;; amdgpu-corpus repo=ROCm/rocFFT kind=compiled arch=gfx1201 opt=O3
	.text
	.amdgcn_target "amdgcn-amd-amdhsa--gfx1201"
	.amdhsa_code_object_version 6
	.protected	bluestein_single_back_len1782_dim1_sp_op_CI_CI ; -- Begin function bluestein_single_back_len1782_dim1_sp_op_CI_CI
	.globl	bluestein_single_back_len1782_dim1_sp_op_CI_CI
	.p2align	8
	.type	bluestein_single_back_len1782_dim1_sp_op_CI_CI,@function
bluestein_single_back_len1782_dim1_sp_op_CI_CI: ; @bluestein_single_back_len1782_dim1_sp_op_CI_CI
; %bb.0:
	s_load_b128 s[12:15], s[0:1], 0x28
	v_mul_u32_u24_e32 v1, 0x296, v0
	s_mov_b32 s2, exec_lo
	v_mov_b32_e32 v123, 0
	s_delay_alu instid0(VALU_DEP_2) | instskip(NEXT) | instid1(VALU_DEP_1)
	v_lshrrev_b32_e32 v1, 16, v1
	v_add_nc_u32_e32 v122, ttmp9, v1
	s_wait_kmcnt 0x0
	s_delay_alu instid0(VALU_DEP_1)
	v_cmpx_gt_u64_e64 s[12:13], v[122:123]
	s_cbranch_execz .LBB0_15
; %bb.1:
	s_clause 0x1
	s_load_b128 s[4:7], s[0:1], 0x18
	s_load_b64 s[12:13], s[0:1], 0x0
	v_mul_lo_u16 v1, 0x63, v1
	s_delay_alu instid0(VALU_DEP_1) | instskip(NEXT) | instid1(VALU_DEP_1)
	v_sub_nc_u16 v33, v0, v1
	v_and_b32_e32 v168, 0xffff, v33
	s_wait_kmcnt 0x0
	s_load_b128 s[8:11], s[4:5], 0x0
	s_wait_kmcnt 0x0
	v_mad_co_u64_u32 v[0:1], null, s10, v122, 0
	v_mad_co_u64_u32 v[2:3], null, s8, v168, 0
	s_mul_u64 s[2:3], s[8:9], 0xa2
	s_delay_alu instid0(VALU_DEP_1) | instskip(NEXT) | instid1(VALU_DEP_1)
	v_mad_co_u64_u32 v[4:5], null, s11, v122, v[1:2]
	v_mov_b32_e32 v1, v4
	s_delay_alu instid0(VALU_DEP_3)
	v_mad_co_u64_u32 v[5:6], null, s9, v168, v[3:4]
	v_lshlrev_b32_e32 v167, 3, v168
	s_clause 0x3
	global_load_b64 v[143:144], v167, s[12:13]
	global_load_b64 v[139:140], v167, s[12:13] offset:1296
	global_load_b64 v[141:142], v167, s[12:13] offset:2592
	;; [unrolled: 1-line block ×3, first 2 shown]
	v_mov_b32_e32 v3, v5
	v_lshlrev_b64_e32 v[0:1], 3, v[0:1]
	s_clause 0x4
	global_load_b64 v[131:132], v167, s[12:13] offset:5184
	global_load_b64 v[133:134], v167, s[12:13] offset:6480
	;; [unrolled: 1-line block ×5, first 2 shown]
	v_lshlrev_b64_e32 v[2:3], 3, v[2:3]
	v_add_co_u32 v0, vcc_lo, s14, v0
	v_add_co_ci_u32_e32 v1, vcc_lo, s15, v1, vcc_lo
	s_lshl_b64 s[14:15], s[2:3], 3
	s_delay_alu instid0(VALU_DEP_2) | instskip(SKIP_1) | instid1(VALU_DEP_2)
	v_add_co_u32 v0, vcc_lo, v0, v2
	s_wait_alu 0xfffd
	v_add_co_ci_u32_e32 v1, vcc_lo, v1, v3, vcc_lo
	s_wait_alu 0xfffe
	s_delay_alu instid0(VALU_DEP_2) | instskip(SKIP_1) | instid1(VALU_DEP_2)
	v_add_co_u32 v2, vcc_lo, v0, s14
	s_wait_alu 0xfffd
	v_add_co_ci_u32_e32 v3, vcc_lo, s15, v1, vcc_lo
	s_clause 0x1
	global_load_b64 v[9:10], v[0:1], off
	global_load_b64 v[11:12], v[2:3], off
	v_add_co_u32 v4, vcc_lo, v2, s14
	s_wait_alu 0xfffd
	v_add_co_ci_u32_e32 v5, vcc_lo, s15, v3, vcc_lo
	s_delay_alu instid0(VALU_DEP_2) | instskip(SKIP_1) | instid1(VALU_DEP_2)
	v_add_co_u32 v6, vcc_lo, v4, s14
	s_wait_alu 0xfffd
	v_add_co_ci_u32_e32 v7, vcc_lo, s15, v5, vcc_lo
	s_delay_alu instid0(VALU_DEP_2)
	v_add_co_u32 v0, vcc_lo, v6, s14
	s_clause 0x1
	global_load_b64 v[13:14], v[4:5], off
	global_load_b64 v[5:6], v[6:7], off
	s_wait_alu 0xfffd
	v_add_co_ci_u32_e32 v1, vcc_lo, s15, v7, vcc_lo
	v_add_co_u32 v2, vcc_lo, v0, s14
	s_wait_alu 0xfffd
	s_delay_alu instid0(VALU_DEP_2)
	v_add_co_ci_u32_e32 v3, vcc_lo, s15, v1, vcc_lo
	global_load_b64 v[15:16], v[0:1], off
	v_add_co_u32 v0, vcc_lo, v2, s14
	s_wait_alu 0xfffd
	v_add_co_ci_u32_e32 v1, vcc_lo, s15, v3, vcc_lo
	global_load_b64 v[17:18], v[2:3], off
	v_add_co_u32 v2, vcc_lo, v0, s14
	s_wait_alu 0xfffd
	;; [unrolled: 4-line block ×5, first 2 shown]
	v_add_co_ci_u32_e32 v1, vcc_lo, s15, v3, vcc_lo
	v_cmp_gt_u16_e32 vcc_lo, 63, v33
	s_wait_loadcnt 0x8
	v_mul_f32_e32 v7, v9, v144
	v_mul_f32_e32 v29, v10, v144
	s_delay_alu instid0(VALU_DEP_2) | instskip(SKIP_2) | instid1(VALU_DEP_1)
	v_fma_f32 v30, v10, v143, -v7
	s_wait_loadcnt 0x7
	v_mul_f32_e32 v7, v11, v140
	v_fma_f32 v32, v12, v139, -v7
	s_wait_loadcnt 0x6
	v_mul_f32_e32 v10, v13, v142
	v_add_nc_u32_e32 v4, 0x1c00, v167
	global_load_b64 v[25:26], v[2:3], off
	s_clause 0x1
	global_load_b64 v[135:136], v167, s[12:13] offset:11664
	global_load_b64 v[137:138], v167, s[12:13] offset:12960
	global_load_b64 v[27:28], v[0:1], off
	v_mul_f32_e32 v31, v12, v140
	s_wait_loadcnt 0x9
	v_dual_mul_f32 v34, v5, v126 :: v_dual_add_nc_u32 v3, 0x800, v167
	v_fmac_f32_e32 v29, v9, v143
	v_mul_f32_e32 v9, v14, v142
	v_fmac_f32_e32 v31, v11, v139
	v_mul_f32_e32 v11, v6, v126
	s_load_b64 s[10:11], s[0:1], 0x38
	s_load_b128 s[4:7], s[6:7], 0x0
	v_fma_f32 v10, v14, v141, -v10
	v_fmac_f32_e32 v9, v13, v141
	v_fma_f32 v12, v6, v125, -v34
	s_wait_loadcnt 0x7
	v_mul_f32_e32 v7, v17, v134
	v_fmac_f32_e32 v11, v5, v125
	v_mul_f32_e32 v5, v16, v132
	v_dual_mul_f32 v13, v18, v134 :: v_dual_mul_f32 v6, v15, v132
	s_delay_alu instid0(VALU_DEP_4)
	v_fma_f32 v14, v18, v133, -v7
	s_wait_loadcnt 0x6
	v_mul_f32_e32 v7, v19, v124
	ds_store_2addr_b64 v167, v[29:30], v[31:32] offset1:162
	ds_store_2addr_b64 v3, v[9:10], v[11:12] offset0:68 offset1:230
	v_mul_f32_e32 v9, v20, v124
	s_wait_loadcnt 0x5
	v_mul_f32_e32 v12, v21, v128
	v_mul_f32_e32 v11, v22, v128
	v_fmac_f32_e32 v5, v15, v131
	v_fmac_f32_e32 v13, v17, v133
	v_fma_f32 v10, v20, v123, -v7
	s_wait_loadcnt 0x4
	v_mul_f32_e32 v15, v24, v130
	v_mul_f32_e32 v7, v23, v130
	v_add_co_u32 v120, s2, s12, v167
	v_fmac_f32_e32 v9, v19, v123
	v_add_co_ci_u32_e64 v121, null, s13, 0, s2
	v_add_nc_u32_e32 v2, 0x1400, v167
	v_add_nc_u32_e32 v8, 0x2800, v167
	v_fma_f32 v6, v16, v131, -v6
	v_fmac_f32_e32 v11, v21, v127
	v_fma_f32 v12, v22, v127, -v12
	v_fmac_f32_e32 v15, v23, v129
	v_fma_f32 v16, v24, v129, -v7
	s_wait_loadcnt 0x2
	v_mul_f32_e32 v17, v26, v136
	s_wait_loadcnt 0x0
	v_dual_mul_f32 v18, v25, v136 :: v_dual_mul_f32 v19, v28, v138
	s_delay_alu instid0(VALU_DEP_2) | instskip(NEXT) | instid1(VALU_DEP_2)
	v_dual_mul_f32 v20, v27, v138 :: v_dual_fmac_f32 v17, v25, v135
	v_fma_f32 v18, v26, v135, -v18
	s_delay_alu instid0(VALU_DEP_3) | instskip(NEXT) | instid1(VALU_DEP_3)
	v_fmac_f32_e32 v19, v27, v137
	v_fma_f32 v20, v28, v137, -v20
	ds_store_2addr_b64 v2, v[5:6], v[13:14] offset0:8 offset1:170
	ds_store_2addr_b64 v4, v[9:10], v[11:12] offset0:76 offset1:238
	;; [unrolled: 1-line block ×3, first 2 shown]
	ds_store_b64 v167, v[19:20] offset:12960
	s_and_saveexec_b32 s3, vcc_lo
	s_cbranch_execz .LBB0_3
; %bb.2:
	v_mad_co_u64_u32 v[0:1], null, 0xffffd078, s8, v[0:1]
	s_mul_i32 s2, s9, 0xffffd078
	s_clause 0x3
	global_load_b64 v[5:6], v[120:121], off offset:792
	global_load_b64 v[9:10], v[120:121], off offset:2088
	global_load_b64 v[11:12], v[120:121], off offset:3384
	global_load_b64 v[13:14], v[120:121], off offset:4680
	s_wait_alu 0xfffe
	s_sub_co_i32 s2, s2, s8
	s_clause 0x1
	global_load_b64 v[17:18], v[120:121], off offset:5976
	global_load_b64 v[19:20], v[120:121], off offset:7272
	v_add_nc_u32_e32 v54, 0x2000, v167
	s_wait_alu 0xfffe
	v_add_nc_u32_e32 v1, s2, v1
	v_add_co_u32 v15, s2, v0, s14
	s_wait_alu 0xf1ff
	s_delay_alu instid0(VALU_DEP_2) | instskip(NEXT) | instid1(VALU_DEP_2)
	v_add_co_ci_u32_e64 v16, s2, s15, v1, s2
	v_add_co_u32 v21, s2, v15, s14
	global_load_b64 v[0:1], v[0:1], off
	s_wait_alu 0xf1ff
	v_add_co_ci_u32_e64 v22, s2, s15, v16, s2
	v_add_co_u32 v23, s2, v21, s14
	global_load_b64 v[15:16], v[15:16], off
	s_wait_alu 0xf1ff
	;; [unrolled: 4-line block ×6, first 2 shown]
	v_add_co_ci_u32_e64 v32, s2, s15, v30, s2
	v_add_co_u32 v33, s2, v31, s14
	v_add_nc_u32_e32 v51, 0x200, v167
	s_wait_alu 0xf1ff
	s_delay_alu instid0(VALU_DEP_3)
	v_add_co_ci_u32_e64 v34, s2, s15, v32, s2
	s_clause 0x1
	global_load_b64 v[35:36], v[120:121], off offset:8568
	global_load_b64 v[37:38], v[120:121], off offset:9864
	global_load_b64 v[29:30], v[29:30], off
	global_load_b64 v[31:32], v[31:32], off
	;; [unrolled: 1-line block ×3, first 2 shown]
	v_add_co_u32 v33, s2, v33, s14
	s_wait_alu 0xf1ff
	v_add_co_ci_u32_e64 v34, s2, s15, v34, s2
	global_load_b64 v[41:42], v[120:121], off offset:11160
	v_add_co_u32 v43, s2, v33, s14
	s_wait_alu 0xf1ff
	v_add_co_ci_u32_e64 v44, s2, s15, v34, s2
	global_load_b64 v[33:34], v[33:34], off
	s_clause 0x1
	global_load_b64 v[45:46], v[120:121], off offset:12456
	global_load_b64 v[47:48], v[120:121], off offset:13752
	global_load_b64 v[43:44], v[43:44], off
	v_add_nc_u32_e32 v52, 0xc00, v167
	v_add_nc_u32_e32 v55, 0x2a00, v167
	s_wait_loadcnt 0xf
	v_mul_f32_e32 v49, v1, v6
	v_mul_f32_e32 v7, v0, v6
	s_wait_loadcnt 0xe
	v_mul_f32_e32 v6, v16, v10
	v_dual_mul_f32 v10, v15, v10 :: v_dual_add_nc_u32 v53, 0x1600, v167
	v_fmac_f32_e32 v49, v0, v5
	v_fma_f32 v50, v1, v5, -v7
	s_wait_loadcnt 0xd
	v_mul_f32_e32 v0, v22, v12
	v_fmac_f32_e32 v6, v15, v9
	v_fma_f32 v7, v16, v9, -v10
	v_mul_f32_e32 v1, v21, v12
	s_wait_loadcnt 0xc
	v_dual_mul_f32 v5, v24, v14 :: v_dual_fmac_f32 v0, v21, v11
	ds_store_2addr_b64 v51, v[49:50], v[6:7] offset0:35 offset1:197
	v_mul_f32_e32 v6, v23, v14
	v_fma_f32 v1, v22, v11, -v1
	s_wait_loadcnt 0xb
	v_mul_f32_e32 v7, v25, v18
	v_mul_f32_e32 v9, v26, v18
	v_fmac_f32_e32 v5, v23, v13
	v_fma_f32 v6, v24, v13, -v6
	s_wait_loadcnt 0xa
	v_mul_f32_e32 v11, v28, v20
	v_mul_f32_e32 v12, v27, v20
	v_fma_f32 v10, v26, v17, -v7
	s_delay_alu instid0(VALU_DEP_2)
	v_fma_f32 v12, v28, v19, -v12
	s_wait_loadcnt 0x6
	v_dual_mul_f32 v16, v31, v38 :: v_dual_mul_f32 v7, v29, v36
	v_mul_f32_e32 v13, v30, v36
	v_mul_f32_e32 v15, v32, v38
	v_fmac_f32_e32 v11, v27, v19
	s_delay_alu instid0(VALU_DEP_4)
	v_fma_f32 v16, v32, v37, -v16
	v_fma_f32 v14, v30, v35, -v7
	s_wait_loadcnt 0x4
	v_mul_f32_e32 v7, v39, v42
	v_fmac_f32_e32 v13, v29, v35
	s_wait_loadcnt 0x2
	v_mul_f32_e32 v19, v34, v46
	v_mul_f32_e32 v20, v33, v46
	s_wait_loadcnt 0x0
	v_dual_mul_f32 v22, v43, v48 :: v_dual_fmac_f32 v9, v25, v17
	v_mul_f32_e32 v17, v40, v42
	v_mul_f32_e32 v21, v44, v48
	v_fmac_f32_e32 v15, v31, v37
	v_fma_f32 v18, v40, v41, -v7
	v_fmac_f32_e32 v19, v33, v45
	v_fmac_f32_e32 v17, v39, v41
	v_fma_f32 v20, v34, v45, -v20
	v_fmac_f32_e32 v21, v43, v47
	v_fma_f32 v22, v44, v47, -v22
	ds_store_2addr_b64 v52, v[0:1], v[5:6] offset0:39 offset1:201
	ds_store_2addr_b64 v53, v[9:10], v[11:12] offset0:43 offset1:205
	;; [unrolled: 1-line block ×4, first 2 shown]
	ds_store_b64 v167, v[21:22] offset:13752
.LBB0_3:
	s_wait_alu 0xfffe
	s_or_b32 exec_lo, exec_lo, s3
	global_wb scope:SCOPE_SE
	s_wait_dscnt 0x0
	s_wait_kmcnt 0x0
	s_barrier_signal -1
	s_barrier_wait -1
	global_inv scope:SCOPE_SE
	ds_load_2addr_b64 v[36:39], v167 offset1:162
	ds_load_2addr_b64 v[28:31], v3 offset0:68 offset1:230
	ds_load_2addr_b64 v[0:3], v2 offset0:8 offset1:170
	;; [unrolled: 1-line block ×4, first 2 shown]
	ds_load_b64 v[42:43], v167 offset:12960
	s_load_b64 s[0:1], s[0:1], 0x8
	v_mov_b32_e32 v12, 0
	v_mov_b32_e32 v13, 0
                                        ; implicit-def: $vgpr16
                                        ; implicit-def: $vgpr8
                                        ; implicit-def: $vgpr40
                                        ; implicit-def: $vgpr22
                                        ; implicit-def: $vgpr26
	s_and_saveexec_b32 s2, vcc_lo
	s_cbranch_execz .LBB0_5
; %bb.4:
	v_add_nc_u32_e32 v8, 0x200, v167
	v_add_nc_u32_e32 v9, 0xc00, v167
	;; [unrolled: 1-line block ×5, first 2 shown]
	ds_load_2addr_b64 v[12:15], v8 offset0:35 offset1:197
	ds_load_2addr_b64 v[24:27], v9 offset0:39 offset1:201
	;; [unrolled: 1-line block ×5, first 2 shown]
	ds_load_b64 v[40:41], v167 offset:13752
.LBB0_5:
	s_wait_alu 0xfffe
	s_or_b32 exec_lo, exec_lo, s2
	s_wait_dscnt 0x5
	v_dual_add_f32 v44, v36, v38 :: v_dual_add_f32 v45, v37, v39
	v_add_co_u32 v76, s2, 0x63, v168
	s_wait_alu 0xf1ff
	v_add_co_ci_u32_e64 v46, null, 0, 0, s2
	s_wait_dscnt 0x4
	v_dual_add_f32 v44, v44, v28 :: v_dual_add_f32 v45, v45, v29
	s_wait_dscnt 0x0
	v_add_f32_e32 v46, v42, v38
	v_dual_sub_f32 v48, v38, v42 :: v_dual_add_f32 v49, v43, v39
	s_delay_alu instid0(VALU_DEP_3) | instskip(SKIP_1) | instid1(VALU_DEP_3)
	v_dual_add_f32 v44, v44, v30 :: v_dual_sub_f32 v47, v39, v43
	v_dual_add_f32 v45, v45, v31 :: v_dual_sub_f32 v86, v20, v18
	v_mul_f32_e32 v51, 0xbf68dda4, v48
	s_delay_alu instid0(VALU_DEP_3) | instskip(NEXT) | instid1(VALU_DEP_3)
	v_add_f32_e32 v38, v44, v0
	v_dual_mul_f32 v44, 0xbf0a6770, v47 :: v_dual_add_f32 v39, v45, v1
	v_mul_f32_e32 v45, 0xbf0a6770, v48
	v_mul_f32_e32 v50, 0xbf68dda4, v47
	s_delay_alu instid0(VALU_DEP_4) | instskip(NEXT) | instid1(VALU_DEP_4)
	v_add_f32_e32 v38, v38, v2
	v_fma_f32 v53, 0x3f575c64, v46, -v44
	v_add_f32_e32 v39, v39, v3
	v_mul_f32_e32 v52, 0xbf7d64f0, v47
	v_fma_f32 v55, 0x3ed4b147, v46, -v50
	v_fmamk_f32 v56, v49, 0x3ed4b147, v51
	v_fma_f32 v51, 0x3ed4b147, v49, -v51
	v_dual_add_f32 v39, v39, v5 :: v_dual_add_f32 v38, v38, v4
	v_dual_fmac_f32 v44, 0x3f575c64, v46 :: v_dual_add_f32 v53, v36, v53
	v_add_f32_e32 v55, v36, v55
	s_delay_alu instid0(VALU_DEP_3) | instskip(SKIP_2) | instid1(VALU_DEP_3)
	v_dual_add_f32 v39, v39, v7 :: v_dual_fmamk_f32 v54, v49, 0x3f575c64, v45
	v_add_f32_e32 v56, v37, v56
	v_fma_f32 v45, 0x3f575c64, v49, -v45
	v_dual_fmac_f32 v50, 0x3ed4b147, v46 :: v_dual_add_f32 v39, v39, v33
	v_add_f32_e32 v38, v38, v6
	v_add_f32_e32 v54, v37, v54
	s_delay_alu instid0(VALU_DEP_4) | instskip(NEXT) | instid1(VALU_DEP_3)
	v_dual_add_f32 v45, v37, v45 :: v_dual_sub_f32 v90, v22, v16
	v_dual_add_f32 v39, v39, v35 :: v_dual_add_f32 v38, v38, v32
	v_add_f32_e32 v51, v37, v51
	v_mul_u32_u24_e32 v169, 11, v76
	s_delay_alu instid0(VALU_DEP_3) | instskip(NEXT) | instid1(VALU_DEP_4)
	v_dual_mul_f32 v74, 0x3f0a6770, v90 :: v_dual_add_f32 v39, v39, v43
	v_dual_add_f32 v38, v38, v34 :: v_dual_mul_f32 v43, 0xbf7d64f0, v48
	v_mul_f32_e32 v59, 0xbf4178ce, v48
	v_add_f32_e32 v44, v36, v44
	v_mul_f32_e32 v48, 0xbe903f40, v48
	s_delay_alu instid0(VALU_DEP_4) | instskip(SKIP_4) | instid1(VALU_DEP_4)
	v_add_f32_e32 v38, v38, v42
	v_fma_f32 v42, 0xbe11bafb, v46, -v52
	v_fmamk_f32 v57, v49, 0xbe11bafb, v43
	v_fma_f32 v43, 0xbe11bafb, v49, -v43
	v_fmac_f32_e32 v52, 0xbe11bafb, v46
	v_dual_fmamk_f32 v61, v49, 0xbf27a4f4, v59 :: v_dual_add_f32 v42, v36, v42
	v_mul_f32_e32 v58, 0xbf4178ce, v47
	s_delay_alu instid0(VALU_DEP_3)
	v_dual_add_f32 v43, v37, v43 :: v_dual_add_f32 v52, v36, v52
	v_sub_f32_e32 v63, v29, v35
	v_mul_f32_e32 v47, 0xbe903f40, v47
	v_add_f32_e32 v61, v37, v61
	v_fma_f32 v60, 0xbf27a4f4, v46, -v58
	v_dual_fmac_f32 v58, 0xbf27a4f4, v46 :: v_dual_add_f32 v65, v34, v28
	v_sub_f32_e32 v28, v28, v34
	v_fma_f32 v59, 0xbf27a4f4, v49, -v59
	v_fma_f32 v62, 0xbf75a155, v46, -v47
	v_fmac_f32_e32 v47, 0xbf75a155, v46
	v_dual_add_f32 v29, v35, v29 :: v_dual_fmamk_f32 v64, v49, 0xbf75a155, v48
	v_fma_f32 v34, 0xbf75a155, v49, -v48
	v_mul_f32_e32 v46, 0xbf68dda4, v28
	v_dual_add_f32 v50, v36, v50 :: v_dual_add_f32 v57, v37, v57
	v_dual_add_f32 v60, v36, v60 :: v_dual_add_f32 v59, v37, v59
	v_add_f32_e32 v62, v36, v62
	v_add_f32_e32 v48, v37, v64
	;; [unrolled: 1-line block ×3, first 2 shown]
	v_fmamk_f32 v37, v29, 0x3ed4b147, v46
	v_mul_f32_e32 v66, 0xbf68dda4, v63
	global_wb scope:SCOPE_SE
	s_wait_kmcnt 0x0
	s_barrier_signal -1
	s_barrier_wait -1
	v_add_f32_e32 v37, v37, v54
	v_fma_f32 v35, 0x3ed4b147, v65, -v66
	v_add_f32_e32 v58, v36, v58
	v_add_f32_e32 v36, v36, v47
	v_mul_f32_e32 v47, 0xbf4178ce, v63
	v_mul_f32_e32 v49, 0xbf4178ce, v28
	v_dual_add_f32 v35, v35, v53 :: v_dual_mul_f32 v54, 0x3e903f40, v63
	v_mul_f32_e32 v64, 0x3f7d64f0, v28
	s_delay_alu instid0(VALU_DEP_4)
	v_fma_f32 v53, 0xbf27a4f4, v65, -v47
	v_fmac_f32_e32 v47, 0xbf27a4f4, v65
	v_fmac_f32_e32 v66, 0x3ed4b147, v65
	global_inv scope:SCOPE_SE
	v_sub_f32_e32 v73, v24, v10
	v_add_f32_e32 v53, v53, v55
	v_add_f32_e32 v47, v47, v50
	v_fma_f32 v46, 0x3ed4b147, v29, -v46
	v_fma_f32 v55, 0xbf75a155, v65, -v54
	v_dual_mul_f32 v50, 0x3f7d64f0, v63 :: v_dual_sub_f32 v77, v27, v9
	v_sub_f32_e32 v85, v21, v19
	s_delay_alu instid0(VALU_DEP_4)
	v_dual_add_f32 v45, v46, v45 :: v_dual_fmamk_f32 v46, v29, 0xbf27a4f4, v49
	v_fma_f32 v49, 0xbf27a4f4, v29, -v49
	v_add_f32_e32 v42, v55, v42
	v_add_f32_e32 v44, v66, v44
	v_sub_f32_e32 v68, v25, v11
	v_add_f32_e32 v46, v46, v56
	v_dual_mul_f32 v56, 0x3e903f40, v28 :: v_dual_add_f32 v49, v49, v51
	v_dual_mul_f32 v28, 0x3f0a6770, v28 :: v_dual_sub_f32 v89, v23, v17
	s_delay_alu instid0(VALU_DEP_4) | instskip(NEXT) | instid1(VALU_DEP_3)
	v_mul_f32_e32 v66, 0x3f7d64f0, v68
	v_fma_f32 v55, 0xbf75a155, v29, -v56
	v_mul_f32_e32 v82, 0xbe903f40, v85
	v_mul_f32_e32 v67, 0x3f7d64f0, v73
	v_sub_f32_e32 v81, v26, v8
	v_mul_f32_e32 v79, 0xbf0a6770, v86
	v_add_f32_e32 v43, v55, v43
	v_fmamk_f32 v51, v29, 0xbf75a155, v56
	v_fmamk_f32 v55, v29, 0xbe11bafb, v64
	v_fma_f32 v56, 0xbe11bafb, v65, -v50
	v_mul_f32_e32 v78, 0xbf0a6770, v81
	v_mul_f32_e32 v72, 0x3f68dda4, v81
	v_add_f32_e32 v51, v51, v57
	v_fma_f32 v57, 0xbe11bafb, v29, -v64
	v_add_f32_e32 v55, v55, v61
	v_fmac_f32_e32 v54, 0xbf75a155, v65
	v_fmamk_f32 v61, v29, 0x3f575c64, v28
	v_fma_f32 v28, 0x3f575c64, v29, -v28
	v_add_f32_e32 v57, v57, v59
	s_delay_alu instid0(VALU_DEP_4)
	v_dual_add_f32 v29, v33, v31 :: v_dual_add_f32 v52, v54, v52
	v_add_f32_e32 v54, v56, v60
	v_mul_f32_e32 v56, 0x3f0a6770, v63
	v_add_f32_e32 v28, v28, v34
	v_dual_sub_f32 v64, v14, v40 :: v_dual_mul_f32 v75, 0xbf0a6770, v77
	v_mul_f32_e32 v71, 0xbf0a6770, v85
	s_delay_alu instid0(VALU_DEP_4) | instskip(SKIP_2) | instid1(VALU_DEP_3)
	v_fma_f32 v60, 0x3f575c64, v65, -v56
	v_fmac_f32_e32 v56, 0x3f575c64, v65
	v_mul_f32_e32 v83, 0xbe903f40, v86
	v_dual_add_f32 v59, v60, v62 :: v_dual_fmac_f32 v50, 0xbe11bafb, v65
	v_add_f32_e32 v60, v32, v30
	s_delay_alu instid0(VALU_DEP_2) | instskip(SKIP_2) | instid1(VALU_DEP_1)
	v_add_f32_e32 v50, v50, v58
	v_sub_f32_e32 v58, v31, v33
	v_sub_f32_e32 v30, v30, v32
	v_dual_add_f32 v36, v56, v36 :: v_dual_mul_f32 v31, 0xbf7d64f0, v30
	s_delay_alu instid0(VALU_DEP_1) | instskip(SKIP_1) | instid1(VALU_DEP_2)
	v_fmamk_f32 v56, v29, 0xbe11bafb, v31
	v_fma_f32 v31, 0xbe11bafb, v29, -v31
	v_dual_add_f32 v37, v56, v37 :: v_dual_mul_f32 v56, 0x3e903f40, v30
	s_delay_alu instid0(VALU_DEP_2) | instskip(NEXT) | instid1(VALU_DEP_2)
	v_add_f32_e32 v31, v31, v45
	v_fmamk_f32 v45, v29, 0xbf75a155, v56
	v_mul_f32_e32 v32, 0xbf7d64f0, v58
	v_mul_f32_e32 v34, 0x3e903f40, v58
	s_delay_alu instid0(VALU_DEP_3) | instskip(NEXT) | instid1(VALU_DEP_3)
	v_add_f32_e32 v45, v45, v46
	v_fma_f32 v33, 0xbe11bafb, v60, -v32
	s_delay_alu instid0(VALU_DEP_1) | instskip(NEXT) | instid1(VALU_DEP_4)
	v_add_f32_e32 v33, v33, v35
	v_fma_f32 v35, 0xbf75a155, v60, -v34
	v_add_f32_e32 v48, v61, v48
	s_delay_alu instid0(VALU_DEP_2) | instskip(SKIP_1) | instid1(VALU_DEP_1)
	v_dual_fmac_f32 v34, 0xbf75a155, v60 :: v_dual_add_f32 v35, v35, v53
	v_fma_f32 v53, 0xbf75a155, v29, -v56
	v_dual_add_f32 v46, v53, v49 :: v_dual_mul_f32 v49, 0xbf0a6770, v58
	v_mul_f32_e32 v56, 0x3f68dda4, v30
	s_delay_alu instid0(VALU_DEP_1) | instskip(SKIP_1) | instid1(VALU_DEP_4)
	v_dual_add_f32 v34, v34, v47 :: v_dual_fmamk_f32 v47, v29, 0x3ed4b147, v56
	v_fma_f32 v53, 0x3ed4b147, v29, -v56
	v_fma_f32 v56, 0x3f575c64, v60, -v49
	v_fmac_f32_e32 v49, 0x3f575c64, v60
	s_delay_alu instid0(VALU_DEP_4) | instskip(SKIP_1) | instid1(VALU_DEP_3)
	v_dual_add_f32 v47, v47, v51 :: v_dual_fmac_f32 v32, 0xbe11bafb, v60
	v_mul_f32_e32 v51, 0xbf0a6770, v30
	v_add_f32_e32 v49, v49, v50
	s_delay_alu instid0(VALU_DEP_3) | instskip(SKIP_1) | instid1(VALU_DEP_4)
	v_dual_add_f32 v43, v53, v43 :: v_dual_add_f32 v32, v32, v44
	v_mul_f32_e32 v44, 0x3f68dda4, v58
	v_fmamk_f32 v53, v29, 0x3f575c64, v51
	v_fma_f32 v51, 0x3f575c64, v29, -v51
	s_delay_alu instid0(VALU_DEP_3) | instskip(NEXT) | instid1(VALU_DEP_3)
	v_fma_f32 v61, 0x3ed4b147, v60, -v44
	v_dual_fmac_f32 v44, 0x3ed4b147, v60 :: v_dual_add_f32 v53, v53, v55
	v_sub_f32_e32 v55, v1, v7
	v_add_f32_e32 v1, v7, v1
	v_dual_add_f32 v50, v51, v57 :: v_dual_sub_f32 v57, v0, v6
	v_add_f32_e32 v42, v61, v42
	v_dual_add_f32 v54, v56, v54 :: v_dual_mul_f32 v61, 0x3e903f40, v73
	s_delay_alu instid0(VALU_DEP_3) | instskip(SKIP_2) | instid1(VALU_DEP_2)
	v_dual_mul_f32 v7, 0xbf4178ce, v57 :: v_dual_add_f32 v44, v44, v52
	v_mul_f32_e32 v52, 0xbf4178ce, v58
	v_mul_f32_e32 v30, 0xbf4178ce, v30
	v_fma_f32 v56, 0xbf27a4f4, v60, -v52
	s_delay_alu instid0(VALU_DEP_1) | instskip(SKIP_1) | instid1(VALU_DEP_2)
	v_dual_add_f32 v51, v56, v59 :: v_dual_fmamk_f32 v56, v29, 0xbf27a4f4, v30
	v_fma_f32 v29, 0xbf27a4f4, v29, -v30
	v_add_f32_e32 v30, v56, v48
	s_delay_alu instid0(VALU_DEP_2) | instskip(SKIP_3) | instid1(VALU_DEP_3)
	v_add_f32_e32 v28, v29, v28
	v_fmamk_f32 v29, v1, 0xbf27a4f4, v7
	v_fma_f32 v7, 0xbf27a4f4, v1, -v7
	v_mul_f32_e32 v56, 0xbf0a6770, v57
	v_dual_add_f32 v0, v6, v0 :: v_dual_add_f32 v29, v29, v37
	s_delay_alu instid0(VALU_DEP_3) | instskip(SKIP_4) | instid1(VALU_DEP_3)
	v_add_f32_e32 v7, v7, v31
	v_mul_f32_e32 v31, 0xbf0a6770, v55
	v_mul_f32_e32 v6, 0xbf4178ce, v55
	v_fmac_f32_e32 v52, 0xbf27a4f4, v60
	v_mul_f32_e32 v60, 0x3f68dda4, v77
	v_fma_f32 v48, 0xbf27a4f4, v0, -v6
	s_delay_alu instid0(VALU_DEP_3) | instskip(NEXT) | instid1(VALU_DEP_2)
	v_add_f32_e32 v36, v52, v36
	v_dual_mul_f32 v52, 0x3f7d64f0, v55 :: v_dual_add_f32 v33, v48, v33
	v_fmac_f32_e32 v6, 0xbf27a4f4, v0
	s_delay_alu instid0(VALU_DEP_2) | instskip(NEXT) | instid1(VALU_DEP_2)
	v_fma_f32 v37, 0xbe11bafb, v0, -v52
	v_add_f32_e32 v6, v6, v32
	v_mul_f32_e32 v48, 0x3f7d64f0, v57
	s_delay_alu instid0(VALU_DEP_3) | instskip(NEXT) | instid1(VALU_DEP_2)
	v_add_f32_e32 v32, v37, v35
	v_fmamk_f32 v35, v1, 0xbe11bafb, v48
	v_fma_f32 v37, 0xbe11bafb, v1, -v48
	s_delay_alu instid0(VALU_DEP_2) | instskip(SKIP_4) | instid1(VALU_DEP_3)
	v_add_f32_e32 v35, v35, v45
	v_fmamk_f32 v45, v1, 0x3f575c64, v56
	v_fma_f32 v48, 0x3f575c64, v0, -v31
	v_fmac_f32_e32 v31, 0x3f575c64, v0
	v_dual_fmac_f32 v52, 0xbe11bafb, v0 :: v_dual_add_f32 v37, v37, v46
	v_dual_add_f32 v45, v45, v47 :: v_dual_add_f32 v42, v48, v42
	v_mul_f32_e32 v46, 0xbe903f40, v55
	s_delay_alu instid0(VALU_DEP_3) | instskip(SKIP_2) | instid1(VALU_DEP_4)
	v_dual_add_f32 v34, v52, v34 :: v_dual_add_f32 v31, v31, v44
	v_mul_f32_e32 v52, 0xbe903f40, v57
	v_fma_f32 v48, 0x3f575c64, v1, -v56
	v_fma_f32 v47, 0xbf75a155, v0, -v46
	s_delay_alu instid0(VALU_DEP_2) | instskip(NEXT) | instid1(VALU_DEP_2)
	v_dual_fmac_f32 v46, 0xbf75a155, v0 :: v_dual_add_f32 v43, v48, v43
	v_dual_add_f32 v47, v47, v54 :: v_dual_fmamk_f32 v44, v1, 0xbf75a155, v52
	v_fma_f32 v52, 0xbf75a155, v1, -v52
	v_mul_f32_e32 v54, 0x3f68dda4, v57
	v_sub_f32_e32 v57, v15, v41
	s_delay_alu instid0(VALU_DEP_3)
	v_dual_add_f32 v46, v46, v49 :: v_dual_add_f32 v49, v52, v50
	v_sub_f32_e32 v50, v3, v5
	v_mul_f32_e32 v48, 0x3f68dda4, v55
	v_add_f32_e32 v44, v44, v53
	v_mul_f32_e32 v56, 0xbf4178ce, v57
	v_mul_f32_e32 v55, 0x3e903f40, v77
	s_delay_alu instid0(VALU_DEP_4) | instskip(NEXT) | instid1(VALU_DEP_1)
	v_fma_f32 v53, 0x3ed4b147, v0, -v48
	v_add_f32_e32 v51, v53, v51
	v_dual_add_f32 v53, v4, v2 :: v_dual_sub_f32 v2, v2, v4
	v_fmamk_f32 v52, v1, 0x3ed4b147, v54
	v_fmac_f32_e32 v48, 0x3ed4b147, v0
	v_fma_f32 v0, 0x3ed4b147, v1, -v54
	v_add_f32_e32 v1, v5, v3
	v_mul_f32_e32 v3, 0xbe903f40, v2
	v_mul_f32_e32 v54, 0x3e903f40, v68
	s_delay_alu instid0(VALU_DEP_4) | instskip(NEXT) | instid1(VALU_DEP_3)
	v_add_f32_e32 v0, v0, v28
	v_fmamk_f32 v28, v1, 0xbf75a155, v3
	v_fma_f32 v3, 0xbf75a155, v1, -v3
	s_delay_alu instid0(VALU_DEP_2) | instskip(NEXT) | instid1(VALU_DEP_2)
	v_add_f32_e32 v92, v28, v29
	v_dual_add_f32 v94, v3, v7 :: v_dual_mul_f32 v3, 0xbf4178ce, v50
	v_mul_f32_e32 v28, 0x3f0a6770, v2
	s_delay_alu instid0(VALU_DEP_2) | instskip(SKIP_1) | instid1(VALU_DEP_2)
	v_fma_f32 v7, 0xbf27a4f4, v53, -v3
	v_fmac_f32_e32 v3, 0xbf27a4f4, v53
	v_add_f32_e32 v99, v7, v42
	v_mul_f32_e32 v7, 0x3f68dda4, v2
	s_delay_alu instid0(VALU_DEP_3) | instskip(NEXT) | instid1(VALU_DEP_2)
	v_add_f32_e32 v101, v3, v31
	v_fmamk_f32 v3, v1, 0x3ed4b147, v7
	v_mul_f32_e32 v4, 0xbe903f40, v50
	s_delay_alu instid0(VALU_DEP_1) | instskip(SKIP_1) | instid1(VALU_DEP_2)
	v_fma_f32 v5, 0xbf75a155, v53, -v4
	v_fmac_f32_e32 v4, 0xbf75a155, v53
	v_add_f32_e32 v91, v5, v33
	v_mul_f32_e32 v5, 0x3f0a6770, v50
	s_delay_alu instid0(VALU_DEP_3) | instskip(SKIP_2) | instid1(VALU_DEP_4)
	v_dual_add_f32 v93, v4, v6 :: v_dual_fmamk_f32 v4, v1, 0x3f575c64, v28
	v_fma_f32 v6, 0x3f575c64, v1, -v28
	v_add_f32_e32 v104, v3, v44
	v_fma_f32 v29, 0x3f575c64, v53, -v5
	s_delay_alu instid0(VALU_DEP_4) | instskip(SKIP_2) | instid1(VALU_DEP_3)
	v_dual_fmac_f32 v5, 0x3f575c64, v53 :: v_dual_add_f32 v96, v4, v35
	v_fma_f32 v3, 0x3ed4b147, v1, -v7
	v_mul_f32_e32 v44, 0xbf68dda4, v64
	v_dual_add_f32 v98, v6, v37 :: v_dual_add_f32 v97, v5, v34
	v_mul_f32_e32 v5, 0x3f68dda4, v50
	v_add_f32_e32 v95, v29, v32
	v_mul_f32_e32 v37, 0xbf68dda4, v73
	v_dual_mul_f32 v35, 0xbf68dda4, v57 :: v_dual_mul_f32 v34, 0xbf68dda4, v68
	s_delay_alu instid0(VALU_DEP_4) | instskip(SKIP_1) | instid1(VALU_DEP_2)
	v_fma_f32 v28, 0x3ed4b147, v53, -v5
	v_fmac_f32_e32 v5, 0x3ed4b147, v53
	v_add_f32_e32 v103, v28, v47
	s_delay_alu instid0(VALU_DEP_2) | instskip(SKIP_4) | instid1(VALU_DEP_4)
	v_add_f32_e32 v105, v5, v46
	v_mul_f32_e32 v4, 0xbf4178ce, v2
	v_mul_f32_e32 v2, 0xbf7d64f0, v2
	v_dual_add_f32 v30, v52, v30 :: v_dual_add_f32 v5, v41, v15
	v_mul_f32_e32 v52, 0xbf7d64f0, v64
	v_fmamk_f32 v6, v1, 0xbf27a4f4, v4
	s_delay_alu instid0(VALU_DEP_4)
	v_fmamk_f32 v7, v1, 0xbe11bafb, v2
	v_fma_f32 v4, 0xbf27a4f4, v1, -v4
	v_add_f32_e32 v28, v10, v24
	v_fma_f32 v1, 0xbe11bafb, v1, -v2
	v_add_f32_e32 v100, v6, v45
	v_add_f32_e32 v108, v7, v30
	v_fma_f32 v7, 0xbe11bafb, v5, -v52
	v_add_f32_e32 v102, v4, v43
	v_add_f32_e32 v110, v1, v0
	v_mul_f32_e32 v30, 0xbf0a6770, v57
	v_mul_f32_e32 v47, 0xbf4178ce, v68
	v_add_f32_e32 v7, v7, v13
	v_add_f32_e32 v106, v3, v49
	v_fma_f32 v3, 0x3ed4b147, v5, -v44
	s_delay_alu instid0(VALU_DEP_1) | instskip(NEXT) | instid1(VALU_DEP_1)
	v_dual_add_f32 v3, v3, v13 :: v_dual_mul_f32 v6, 0xbf7d64f0, v50
	v_fma_f32 v4, 0xbe11bafb, v53, -v6
	s_delay_alu instid0(VALU_DEP_1) | instskip(SKIP_2) | instid1(VALU_DEP_2)
	v_add_f32_e32 v107, v4, v51
	v_dual_add_f32 v4, v40, v14 :: v_dual_mul_f32 v51, 0xbf4178ce, v73
	v_add_f32_e32 v36, v48, v36
	v_fmamk_f32 v29, v4, 0xbf27a4f4, v56
	s_delay_alu instid0(VALU_DEP_1) | instskip(SKIP_1) | instid1(VALU_DEP_1)
	v_add_f32_e32 v33, v29, v12
	v_add_f32_e32 v29, v11, v25
	v_fma_f32 v43, 0xbf27a4f4, v29, -v51
	v_fma_f32 v45, 0xbe11bafb, v29, -v67
	s_delay_alu instid0(VALU_DEP_2)
	v_add_f32_e32 v3, v43, v3
	v_mul_f32_e32 v43, 0xbf7d64f0, v77
	v_mul_f32_e32 v32, 0xbf0a6770, v64
	;; [unrolled: 1-line block ×3, first 2 shown]
	v_fmac_f32_e32 v6, 0xbe11bafb, v53
	v_mul_f32_e32 v46, 0xbf7d64f0, v57
	s_delay_alu instid0(VALU_DEP_4) | instskip(NEXT) | instid1(VALU_DEP_4)
	v_fma_f32 v1, 0x3f575c64, v5, -v32
	v_fma_f32 v31, 0xbf27a4f4, v5, -v63
	s_delay_alu instid0(VALU_DEP_3) | instskip(NEXT) | instid1(VALU_DEP_3)
	v_dual_add_f32 v109, v6, v36 :: v_dual_fmamk_f32 v6, v4, 0xbe11bafb, v46
	v_dual_fmamk_f32 v36, v28, 0x3ed4b147, v34 :: v_dual_add_f32 v1, v1, v13
	s_delay_alu instid0(VALU_DEP_3) | instskip(SKIP_1) | instid1(VALU_DEP_2)
	v_add_f32_e32 v42, v31, v13
	v_fma_f32 v31, 0x3ed4b147, v29, -v37
	v_dual_add_f32 v6, v6, v12 :: v_dual_add_f32 v49, v45, v42
	s_delay_alu instid0(VALU_DEP_2) | instskip(SKIP_1) | instid1(VALU_DEP_1)
	v_add_f32_e32 v1, v31, v1
	v_fmamk_f32 v31, v28, 0xbf75a155, v54
	v_dual_mul_f32 v45, 0xbf7d64f0, v81 :: v_dual_add_f32 v6, v31, v6
	v_add_f32_e32 v31, v8, v26
	v_fmamk_f32 v2, v4, 0x3f575c64, v30
	s_delay_alu instid0(VALU_DEP_1) | instskip(SKIP_2) | instid1(VALU_DEP_3)
	v_dual_fmamk_f32 v53, v31, 0x3ed4b147, v60 :: v_dual_add_f32 v0, v2, v12
	v_fmamk_f32 v2, v4, 0x3ed4b147, v35
	v_fmamk_f32 v62, v31, 0x3f575c64, v75
	v_add_f32_e32 v6, v53, v6
	s_delay_alu instid0(VALU_DEP_4) | instskip(NEXT) | instid1(VALU_DEP_4)
	v_add_f32_e32 v0, v36, v0
	v_add_f32_e32 v2, v2, v12
	v_fmamk_f32 v36, v28, 0xbf27a4f4, v47
	v_mul_f32_e32 v53, 0xbf4178ce, v86
	s_delay_alu instid0(VALU_DEP_2) | instskip(SKIP_1) | instid1(VALU_DEP_1)
	v_add_f32_e32 v2, v36, v2
	v_fma_f32 v36, 0xbf75a155, v29, -v61
	v_add_f32_e32 v7, v36, v7
	v_fmamk_f32 v36, v28, 0xbe11bafb, v66
	s_delay_alu instid0(VALU_DEP_1) | instskip(SKIP_1) | instid1(VALU_DEP_2)
	v_dual_add_f32 v48, v36, v33 :: v_dual_add_f32 v33, v9, v27
	v_fmamk_f32 v36, v31, 0xbe11bafb, v43
	v_add_f32_e32 v48, v62, v48
	s_delay_alu instid0(VALU_DEP_3) | instskip(NEXT) | instid1(VALU_DEP_3)
	v_fma_f32 v65, 0x3f575c64, v33, -v78
	v_add_f32_e32 v0, v36, v0
	v_fma_f32 v36, 0xbe11bafb, v33, -v45
	v_fma_f32 v59, 0x3ed4b147, v33, -v72
	s_delay_alu instid0(VALU_DEP_4) | instskip(SKIP_1) | instid1(VALU_DEP_4)
	v_add_f32_e32 v80, v65, v49
	v_mul_f32_e32 v65, 0x3f7d64f0, v85
	v_dual_add_f32 v1, v36, v1 :: v_dual_add_f32 v36, v18, v20
	v_fmamk_f32 v42, v31, 0xbf75a155, v55
	s_delay_alu instid0(VALU_DEP_2) | instskip(NEXT) | instid1(VALU_DEP_2)
	v_dual_add_f32 v7, v59, v7 :: v_dual_fmamk_f32 v62, v36, 0x3f575c64, v71
	v_add_f32_e32 v2, v42, v2
	v_add_f32_e32 v42, v19, v21
	s_delay_alu instid0(VALU_DEP_1) | instskip(SKIP_2) | instid1(VALU_DEP_3)
	v_fma_f32 v49, 0xbf27a4f4, v42, -v53
	v_fma_f32 v70, 0x3f575c64, v42, -v79
	;; [unrolled: 1-line block ×3, first 2 shown]
	v_add_f32_e32 v1, v49, v1
	v_fmamk_f32 v49, v36, 0xbe11bafb, v65
	s_delay_alu instid0(VALU_DEP_4) | instskip(NEXT) | instid1(VALU_DEP_4)
	v_dual_add_f32 v7, v70, v7 :: v_dual_mul_f32 v70, 0x3f0a6770, v89
	v_add_f32_e32 v114, v84, v80
	v_mul_f32_e32 v84, 0xbf4178ce, v90
	s_delay_alu instid0(VALU_DEP_4) | instskip(NEXT) | instid1(VALU_DEP_1)
	v_dual_add_f32 v2, v49, v2 :: v_dual_fmamk_f32 v49, v36, 0xbf75a155, v82
	v_dual_mul_f32 v80, 0xbf4178ce, v89 :: v_dual_add_f32 v111, v49, v48
	v_dual_add_f32 v48, v16, v22 :: v_dual_add_f32 v49, v17, v23
	s_delay_alu instid0(VALU_DEP_1) | instskip(NEXT) | instid1(VALU_DEP_2)
	v_fmamk_f32 v112, v48, 0x3f575c64, v70
	v_fma_f32 v113, 0x3f575c64, v49, -v74
	s_delay_alu instid0(VALU_DEP_2) | instskip(SKIP_2) | instid1(VALU_DEP_1)
	v_add_f32_e32 v2, v112, v2
	v_fma_f32 v112, 0xbf27a4f4, v49, -v84
	v_mul_f32_e32 v58, 0x3e903f40, v81
	v_fma_f32 v50, 0xbf75a155, v33, -v58
	s_delay_alu instid0(VALU_DEP_1) | instskip(NEXT) | instid1(VALU_DEP_1)
	v_dual_add_f32 v3, v50, v3 :: v_dual_mul_f32 v50, 0xbf4178ce, v85
	v_fmamk_f32 v69, v36, 0xbf27a4f4, v50
	s_delay_alu instid0(VALU_DEP_1) | instskip(NEXT) | instid1(VALU_DEP_1)
	v_dual_add_f32 v0, v69, v0 :: v_dual_mul_f32 v69, 0x3f7d64f0, v86
	v_fma_f32 v59, 0xbe11bafb, v42, -v69
	s_delay_alu instid0(VALU_DEP_1) | instskip(SKIP_1) | instid1(VALU_DEP_2)
	v_add_f32_e32 v3, v59, v3
	v_mul_f32_e32 v59, 0xbe903f40, v89
	v_add_f32_e32 v3, v113, v3
	s_delay_alu instid0(VALU_DEP_2) | instskip(NEXT) | instid1(VALU_DEP_1)
	v_fmamk_f32 v87, v48, 0xbf75a155, v59
	v_add_f32_e32 v145, v87, v0
	v_dual_mul_f32 v87, 0x3f68dda4, v89 :: v_dual_add_f32 v6, v62, v6
	v_mul_f32_e32 v62, 0xbe903f40, v90
	v_mul_lo_u16 v0, v168, 11
	s_delay_alu instid0(VALU_DEP_3) | instskip(NEXT) | instid1(VALU_DEP_3)
	v_fmamk_f32 v113, v48, 0x3ed4b147, v87
	v_fma_f32 v88, 0xbf75a155, v49, -v62
	s_delay_alu instid0(VALU_DEP_3) | instskip(NEXT) | instid1(VALU_DEP_2)
	v_and_b32_e32 v116, 0xffff, v0
	v_add_f32_e32 v146, v88, v1
	v_mul_f32_e32 v88, 0x3f68dda4, v90
	s_delay_alu instid0(VALU_DEP_3)
	v_dual_fmamk_f32 v1, v48, 0xbf27a4f4, v80 :: v_dual_lshlrev_b32 v170, 3, v116
	ds_store_2addr_b64 v170, v[38:39], v[91:92] offset1:1
	ds_store_2addr_b64 v170, v[95:96], v[99:100] offset0:2 offset1:3
	v_fma_f32 v115, 0x3ed4b147, v49, -v88
	v_dual_add_f32 v0, v1, v6 :: v_dual_add_f32 v1, v112, v7
	v_add_f32_e32 v6, v113, v111
	ds_store_2addr_b64 v170, v[103:104], v[107:108] offset0:4 offset1:5
	ds_store_2addr_b64 v170, v[109:110], v[105:106] offset0:6 offset1:7
	ds_store_2addr_b64 v170, v[101:102], v[97:98] offset0:8 offset1:9
	ds_store_b64 v170, v[93:94] offset:80
	v_add_f32_e32 v7, v115, v114
	s_and_saveexec_b32 s2, vcc_lo
	s_cbranch_execz .LBB0_7
; %bb.6:
	v_dual_mul_f32 v64, 0xbe903f40, v64 :: v_dual_mul_f32 v155, 0xbe903f40, v57
	v_dual_mul_f32 v38, 0xbf27a4f4, v4 :: v_dual_mul_f32 v39, 0xbf27a4f4, v5
	s_delay_alu instid0(VALU_DEP_2) | instskip(SKIP_4) | instid1(VALU_DEP_4)
	v_dual_mul_f32 v119, 0xbf75a155, v36 :: v_dual_fmamk_f32 v152, v5, 0xbf75a155, v64
	v_dual_mul_f32 v73, 0x3f0a6770, v73 :: v_dual_mul_f32 v68, 0x3f0a6770, v68
	v_dual_mul_f32 v95, 0xbe11bafb, v4 :: v_dual_mul_f32 v96, 0xbe11bafb, v5
	;; [unrolled: 1-line block ×3, first 2 shown]
	v_dual_mul_f32 v149, 0xbf75a155, v49 :: v_dual_sub_f32 v38, v38, v56
	v_dual_add_f32 v57, v152, v13 :: v_dual_fmamk_f32 v152, v29, 0x3f575c64, v73
	v_mul_f32_e32 v81, 0xbf4178ce, v81
	v_fma_f32 v157, 0xbf75a155, v4, -v155
	v_mul_f32_e32 v156, 0x3ed4b147, v48
	s_delay_alu instid0(VALU_DEP_4) | instskip(SKIP_1) | instid1(VALU_DEP_4)
	v_dual_mul_f32 v86, 0x3f68dda4, v86 :: v_dual_add_f32 v57, v152, v57
	v_fma_f32 v158, 0x3f575c64, v28, -v68
	v_add_f32_e32 v157, v157, v12
	v_dual_mul_f32 v77, 0xbf4178ce, v77 :: v_dual_sub_f32 v66, v103, v66
	v_dual_mul_f32 v159, 0x3ed4b147, v49 :: v_dual_add_f32 v52, v52, v96
	v_add_f32_e32 v67, v67, v104
	v_add_f32_e32 v104, v38, v12
	v_dual_fmamk_f32 v152, v33, 0xbf27a4f4, v81 :: v_dual_add_f32 v157, v158, v157
	v_fma_f32 v158, 0xbf27a4f4, v31, -v77
	v_dual_add_f32 v52, v52, v13 :: v_dual_mul_f32 v111, 0x3f575c64, v31
	v_mul_f32_e32 v112, 0x3f575c64, v33
	s_delay_alu instid0(VALU_DEP_4) | instskip(NEXT) | instid1(VALU_DEP_4)
	v_dual_add_f32 v57, v152, v57 :: v_dual_fmamk_f32 v152, v42, 0x3ed4b147, v86
	v_dual_mul_f32 v90, 0xbf7d64f0, v90 :: v_dual_add_f32 v157, v158, v157
	v_add_f32_e32 v63, v63, v39
	v_dual_mul_f32 v101, 0xbf75a155, v28 :: v_dual_mul_f32 v102, 0xbf75a155, v29
	s_delay_alu instid0(VALU_DEP_3) | instskip(NEXT) | instid1(VALU_DEP_3)
	v_dual_add_f32 v57, v152, v57 :: v_dual_fmamk_f32 v152, v49, 0xbe11bafb, v90
	v_add_f32_e32 v63, v63, v13
	v_mul_f32_e32 v89, 0xbf7d64f0, v89
	v_dual_mul_f32 v147, 0xbf75a155, v42 :: v_dual_mul_f32 v148, 0xbf75a155, v48
	s_delay_alu instid0(VALU_DEP_4) | instskip(SKIP_1) | instid1(VALU_DEP_4)
	v_add_f32_e32 v39, v152, v57
	v_dual_mul_f32 v93, 0x3ed4b147, v4 :: v_dual_mul_f32 v94, 0x3ed4b147, v5
	v_fma_f32 v57, 0xbe11bafb, v48, -v89
	v_mul_f32_e32 v85, 0x3f68dda4, v85
	v_dual_mul_f32 v109, 0x3ed4b147, v31 :: v_dual_mul_f32 v110, 0x3ed4b147, v33
	v_dual_mul_f32 v99, 0xbf27a4f4, v28 :: v_dual_mul_f32 v100, 0xbf27a4f4, v29
	s_delay_alu instid0(VALU_DEP_3) | instskip(SKIP_3) | instid1(VALU_DEP_4)
	v_fma_f32 v158, 0x3ed4b147, v36, -v85
	v_dual_mul_f32 v117, 0x3f575c64, v36 :: v_dual_mul_f32 v118, 0x3f575c64, v42
	v_dual_sub_f32 v46, v95, v46 :: v_dual_mul_f32 v107, 0xbf75a155, v31
	v_mul_f32_e32 v108, 0xbf75a155, v33
	v_add_f32_e32 v56, v158, v157
	v_dual_sub_f32 v54, v101, v54 :: v_dual_add_f32 v51, v51, v100
	v_dual_mul_f32 v115, 0xbe11bafb, v36 :: v_dual_mul_f32 v116, 0xbe11bafb, v42
	s_delay_alu instid0(VALU_DEP_3)
	v_add_f32_e32 v38, v57, v56
	v_dual_add_f32 v56, v67, v63 :: v_dual_add_f32 v63, v66, v104
	v_dual_sub_f32 v66, v111, v75 :: v_dual_add_f32 v57, v78, v112
	v_add_f32_e32 v44, v44, v94
	v_add_f32_e32 v46, v46, v12
	v_dual_mul_f32 v150, 0x3f575c64, v48 :: v_dual_mul_f32 v151, 0x3f575c64, v49
	s_delay_alu instid0(VALU_DEP_4) | instskip(SKIP_3) | instid1(VALU_DEP_4)
	v_dual_add_f32 v63, v66, v63 :: v_dual_sub_f32 v66, v119, v82
	v_add_f32_e32 v56, v57, v56
	v_dual_add_f32 v44, v44, v13 :: v_dual_sub_f32 v35, v93, v35
	v_add_f32_e32 v46, v54, v46
	v_add_f32_e32 v63, v66, v63
	v_dual_sub_f32 v66, v156, v87 :: v_dual_add_f32 v61, v61, v102
	v_dual_add_f32 v57, v83, v147 :: v_dual_sub_f32 v54, v109, v60
	v_sub_f32_e32 v47, v99, v47
	v_add_f32_e32 v44, v51, v44
	v_add_f32_e32 v51, v58, v108
	s_delay_alu instid0(VALU_DEP_4) | instskip(SKIP_2) | instid1(VALU_DEP_3)
	v_dual_add_f32 v56, v57, v56 :: v_dual_add_f32 v57, v88, v159
	v_dual_mul_f32 v97, 0x3ed4b147, v28 :: v_dual_mul_f32 v98, 0x3ed4b147, v29
	v_dual_mul_f32 v153, 0xbf27a4f4, v48 :: v_dual_mul_f32 v154, 0xbf27a4f4, v49
	v_dual_add_f32 v57, v57, v56 :: v_dual_add_f32 v56, v66, v63
	v_dual_add_f32 v52, v61, v52 :: v_dual_add_f32 v61, v72, v110
	;; [unrolled: 1-line block ×3, first 2 shown]
	v_sub_f32_e32 v54, v117, v71
	v_dual_add_f32 v44, v51, v44 :: v_dual_add_f32 v37, v37, v98
	s_delay_alu instid0(VALU_DEP_4) | instskip(NEXT) | instid1(VALU_DEP_3)
	v_dual_add_f32 v52, v61, v52 :: v_dual_add_f32 v61, v79, v118
	v_dual_add_f32 v51, v69, v116 :: v_dual_add_f32 v46, v54, v46
	v_dual_mul_f32 v91, 0x3f575c64, v4 :: v_dual_mul_f32 v92, 0x3f575c64, v5
	s_delay_alu instid0(VALU_DEP_3)
	v_dual_add_f32 v52, v61, v52 :: v_dual_add_f32 v61, v84, v154
	v_dual_add_f32 v35, v47, v35 :: v_dual_sub_f32 v54, v153, v80
	v_sub_f32_e32 v47, v107, v55
	v_dual_add_f32 v44, v51, v44 :: v_dual_add_f32 v51, v74, v151
	v_dual_add_f32 v15, v15, v13 :: v_dual_sub_f32 v34, v97, v34
	v_dual_mul_f32 v105, 0xbe11bafb, v31 :: v_dual_mul_f32 v106, 0xbe11bafb, v33
	s_delay_alu instid0(VALU_DEP_4) | instskip(SKIP_4) | instid1(VALU_DEP_4)
	v_dual_add_f32 v35, v47, v35 :: v_dual_add_f32 v46, v54, v46
	v_dual_add_f32 v47, v61, v52 :: v_dual_sub_f32 v30, v91, v30
	v_add_f32_e32 v52, v32, v92
	v_dual_add_f32 v32, v51, v44 :: v_dual_add_f32 v15, v25, v15
	v_dual_add_f32 v14, v14, v12 :: v_dual_add_f32 v25, v45, v106
	v_dual_sub_f32 v55, v115, v65 :: v_dual_add_f32 v30, v30, v12
	s_delay_alu instid0(VALU_DEP_2) | instskip(NEXT) | instid1(VALU_DEP_2)
	v_dual_add_f32 v15, v27, v15 :: v_dual_add_f32 v14, v24, v14
	v_dual_add_f32 v44, v52, v13 :: v_dual_add_f32 v35, v55, v35
	v_dual_mul_f32 v113, 0xbf27a4f4, v36 :: v_dual_mul_f32 v114, 0xbf27a4f4, v42
	s_delay_alu instid0(VALU_DEP_3) | instskip(NEXT) | instid1(VALU_DEP_3)
	v_dual_add_f32 v15, v21, v15 :: v_dual_add_f32 v14, v26, v14
	v_dual_add_f32 v37, v37, v44 :: v_dual_add_f32 v30, v34, v30
	v_sub_f32_e32 v34, v105, v43
	s_delay_alu instid0(VALU_DEP_3) | instskip(NEXT) | instid1(VALU_DEP_3)
	v_dual_add_f32 v23, v23, v15 :: v_dual_add_f32 v14, v20, v14
	v_add_f32_e32 v24, v25, v37
	v_fma_f32 v5, 0xbf75a155, v5, -v64
	s_delay_alu instid0(VALU_DEP_3) | instskip(NEXT) | instid1(VALU_DEP_4)
	v_dual_fmac_f32 v68, 0x3f575c64, v28 :: v_dual_add_f32 v17, v17, v23
	v_add_f32_e32 v22, v22, v14
	v_add_f32_e32 v25, v53, v114
	v_fmac_f32_e32 v155, 0xbf75a155, v4
	v_add_f32_e32 v5, v5, v13
	v_add_f32_e32 v4, v19, v17
	;; [unrolled: 1-line block ×3, first 2 shown]
	s_delay_alu instid0(VALU_DEP_4)
	v_dual_sub_f32 v21, v113, v50 :: v_dual_add_f32 v12, v155, v12
	v_dual_add_f32 v24, v25, v24 :: v_dual_add_f32 v25, v62, v149
	v_add_f32_e32 v27, v34, v30
	v_fma_f32 v13, 0x3f575c64, v29, -v73
	v_add_f32_e32 v4, v9, v4
	v_add_f32_e32 v9, v18, v16
	;; [unrolled: 1-line block ×4, first 2 shown]
	v_sub_f32_e32 v21, v148, v59
	v_add_f32_e32 v5, v13, v5
	v_fma_f32 v13, 0xbf27a4f4, v33, -v81
	v_fmac_f32_e32 v77, 0xbf27a4f4, v31
	v_dual_add_f32 v15, v25, v24 :: v_dual_add_f32 v8, v8, v9
	v_add_f32_e32 v14, v21, v20
	s_delay_alu instid0(VALU_DEP_4)
	v_dual_add_f32 v4, v11, v4 :: v_dual_add_f32 v9, v13, v5
	v_sub_f32_e32 v51, v150, v70
	v_fma_f32 v11, 0x3ed4b147, v42, -v86
	v_add_f32_e32 v12, v77, v12
	v_fmac_f32_e32 v85, 0x3ed4b147, v36
	v_add_f32_e32 v5, v41, v4
	v_add_f32_e32 v4, v10, v8
	;; [unrolled: 1-line block ×3, first 2 shown]
	v_fma_f32 v9, 0xbe11bafb, v49, -v90
	v_fmac_f32_e32 v89, 0xbe11bafb, v48
	v_dual_add_f32 v31, v51, v35 :: v_dual_add_f32 v10, v85, v12
	v_dual_add_f32 v4, v40, v4 :: v_dual_lshlrev_b32 v11, 3, v169
	s_delay_alu instid0(VALU_DEP_4) | instskip(NEXT) | instid1(VALU_DEP_3)
	v_add_f32_e32 v9, v9, v8
	v_add_f32_e32 v8, v89, v10
	ds_store_2addr_b64 v11, v[4:5], v[14:15] offset1:1
	ds_store_2addr_b64 v11, v[31:32], v[46:47] offset0:2 offset1:3
	ds_store_2addr_b64 v11, v[56:57], v[38:39] offset0:4 offset1:5
	;; [unrolled: 1-line block ×4, first 2 shown]
	ds_store_b64 v11, v[145:146] offset:80
.LBB0_7:
	s_wait_alu 0xfffe
	s_or_b32 exec_lo, exec_lo, s2
	v_add_co_u32 v4, null, 0xc6, v168
	v_add_nc_u32_e32 v5, 0x129, v168
	v_add_nc_u32_e32 v56, 0x18c, v168
	global_wb scope:SCOPE_SE
	s_wait_dscnt 0x0
	v_and_b32_e32 v60, 0xffff, v4
	s_barrier_signal -1
	v_and_b32_e32 v58, 0xffff, v5
	v_and_b32_e32 v59, 0xffff, v56
	s_barrier_wait -1
	v_mul_u32_u24_e32 v8, 0xba2f, v60
	global_inv scope:SCOPE_SE
	v_mul_u32_u24_e32 v9, 0xba2f, v58
	v_add_nc_u32_e32 v101, 0x1000, v167
	v_add_nc_u32_e32 v105, 0x2400, v167
	v_lshrrev_b32_e32 v74, 19, v8
	v_mul_u32_u24_e32 v8, 0xba2f, v59
	v_lshrrev_b32_e32 v75, 19, v9
	v_add_nc_u32_e32 v103, 0x400, v167
	s_delay_alu instid0(VALU_DEP_4) | instskip(NEXT) | instid1(VALU_DEP_4)
	v_mul_lo_u16 v9, v74, 11
	v_lshrrev_b32_e32 v89, 19, v8
	s_delay_alu instid0(VALU_DEP_4) | instskip(NEXT) | instid1(VALU_DEP_3)
	v_mul_lo_u16 v8, v75, 11
	v_sub_nc_u16 v90, v4, v9
	s_delay_alu instid0(VALU_DEP_3) | instskip(NEXT) | instid1(VALU_DEP_3)
	v_mul_lo_u16 v9, v89, 11
	v_sub_nc_u16 v92, v5, v8
	s_delay_alu instid0(VALU_DEP_3) | instskip(NEXT) | instid1(VALU_DEP_3)
	v_lshlrev_b16 v8, 1, v90
	v_sub_nc_u16 v93, v56, v9
	s_delay_alu instid0(VALU_DEP_3)
	v_lshlrev_b16 v9, 1, v92
	v_mad_u16 v74, v74, 33, v90
	v_mad_u16 v75, v75, 33, v92
	v_and_b32_e32 v8, 0xffff, v8
	v_mad_u16 v89, v89, 33, v93
	v_and_b32_e32 v9, 0xffff, v9
	s_delay_alu instid0(VALU_DEP_3) | instskip(NEXT) | instid1(VALU_DEP_3)
	v_lshlrev_b32_e32 v8, 3, v8
	v_and_b32_e32 v89, 0xffff, v89
	global_load_b128 v[20:23], v8, s[0:1]
	v_lshlrev_b32_e32 v9, 3, v9
	v_lshlrev_b32_e32 v172, 3, v89
	global_load_b128 v[16:19], v9, s[0:1]
	v_add_nc_u32_e32 v57, 0x1ef, v168
	s_delay_alu instid0(VALU_DEP_1) | instskip(NEXT) | instid1(VALU_DEP_1)
	v_and_b32_e32 v61, 0xffff, v57
	v_mul_u32_u24_e32 v10, 0xba2f, v61
	s_delay_alu instid0(VALU_DEP_1) | instskip(NEXT) | instid1(VALU_DEP_1)
	v_lshrrev_b32_e32 v91, 19, v10
	v_mul_lo_u16 v10, v91, 11
	s_delay_alu instid0(VALU_DEP_1) | instskip(SKIP_1) | instid1(VALU_DEP_2)
	v_sub_nc_u16 v94, v57, v10
	v_lshlrev_b16 v10, 1, v93
	v_lshlrev_b16 v11, 1, v94
	s_delay_alu instid0(VALU_DEP_2) | instskip(SKIP_1) | instid1(VALU_DEP_3)
	v_and_b32_e32 v10, 0xffff, v10
	v_mad_u16 v90, v91, 33, v94
	v_and_b32_e32 v11, 0xffff, v11
	s_delay_alu instid0(VALU_DEP_3) | instskip(NEXT) | instid1(VALU_DEP_3)
	v_lshlrev_b32_e32 v10, 3, v10
	v_and_b32_e32 v90, 0xffff, v90
	global_load_b128 v[12:15], v10, s[0:1]
	v_and_b32_e32 v62, 0xff, v168
	v_and_b32_e32 v63, 0xff, v76
	s_delay_alu instid0(VALU_DEP_2) | instskip(NEXT) | instid1(VALU_DEP_2)
	v_mul_lo_u16 v8, 0x75, v62
	v_mul_lo_u16 v9, 0x75, v63
	s_delay_alu instid0(VALU_DEP_2) | instskip(NEXT) | instid1(VALU_DEP_2)
	v_lshrrev_b16 v24, 8, v8
	v_lshrrev_b16 v25, 8, v9
	v_lshlrev_b32_e32 v8, 3, v11
	s_delay_alu instid0(VALU_DEP_3) | instskip(NEXT) | instid1(VALU_DEP_3)
	v_sub_nc_u16 v26, v168, v24
	v_sub_nc_u16 v27, v76, v25
	global_load_b128 v[8:11], v8, s[0:1]
	v_add_nc_u32_e32 v102, 0x1800, v167
	v_add_nc_u32_e32 v112, 0x2800, v167
	v_lshrrev_b16 v26, 1, v26
	v_lshrrev_b16 v27, 1, v27
	s_delay_alu instid0(VALU_DEP_2) | instskip(NEXT) | instid1(VALU_DEP_2)
	v_and_b32_e32 v26, 0x7f, v26
	v_and_b32_e32 v27, 0x7f, v27
	s_delay_alu instid0(VALU_DEP_2) | instskip(NEXT) | instid1(VALU_DEP_2)
	v_add_nc_u16 v24, v26, v24
	v_add_nc_u16 v25, v27, v25
	s_delay_alu instid0(VALU_DEP_2) | instskip(NEXT) | instid1(VALU_DEP_2)
	v_lshrrev_b16 v95, 3, v24
	v_lshrrev_b16 v96, 3, v25
	s_delay_alu instid0(VALU_DEP_2) | instskip(NEXT) | instid1(VALU_DEP_2)
	v_mul_lo_u16 v24, v95, 11
	v_mul_lo_u16 v25, v96, 11
	v_and_b32_e32 v95, 0xffff, v95
	v_and_b32_e32 v96, 0xffff, v96
	s_delay_alu instid0(VALU_DEP_4) | instskip(NEXT) | instid1(VALU_DEP_4)
	v_sub_nc_u16 v24, v168, v24
	v_sub_nc_u16 v25, v76, v25
	s_delay_alu instid0(VALU_DEP_4) | instskip(NEXT) | instid1(VALU_DEP_3)
	v_mul_u32_u24_e32 v89, 33, v95
	v_and_b32_e32 v97, 0xff, v24
	s_delay_alu instid0(VALU_DEP_3) | instskip(NEXT) | instid1(VALU_DEP_2)
	v_and_b32_e32 v98, 0xff, v25
	v_lshlrev_b32_e32 v24, 4, v97
	s_delay_alu instid0(VALU_DEP_2)
	v_lshlrev_b32_e32 v25, 4, v98
	s_clause 0x1
	global_load_b128 v[28:31], v24, s[0:1]
	global_load_b128 v[24:27], v25, s[0:1]
	ds_load_2addr_b64 v[32:35], v167 offset1:99
	ds_load_2addr_b64 v[36:39], v101 offset0:82 offset1:181
	ds_load_2addr_b64 v[40:43], v105 offset0:36 offset1:135
	;; [unrolled: 1-line block ×5, first 2 shown]
	v_lshlrev_b32_e32 v171, 3, v90
	v_mul_u32_u24_e32 v90, 33, v96
	v_add_lshl_u32 v176, v89, v97, 3
	s_wait_loadcnt_dscnt 0x501
	v_mul_f32_e32 v89, v49, v21
	v_mul_u32_u24_e32 v64, 0xf83f, v60
	s_wait_dscnt 0x0
	v_mul_f32_e32 v95, v52, v23
	v_mul_u32_u24_e32 v65, 0xf83f, v58
	v_mul_u32_u24_e32 v58, 0xa57f, v58
	;; [unrolled: 1-line block ×3, first 2 shown]
	s_wait_loadcnt 0x4
	v_mul_f32_e32 v97, v50, v17
	v_mul_f32_e32 v108, v54, v19
	;; [unrolled: 1-line block ×3, first 2 shown]
	v_lshrrev_b32_e32 v64, 21, v64
	v_mul_u32_u24_e32 v67, 0xf83f, v61
	v_fmac_f32_e32 v97, v51, v16
	v_add_lshl_u32 v175, v90, v98, 3
	v_mul_f32_e32 v90, v48, v21
	v_fma_f32 v48, v48, v20, -v89
	v_add_nc_u32_e32 v100, 0x800, v167
	v_fmac_f32_e32 v108, v55, v18
	v_fma_f32 v50, v50, v16, -v96
	v_add_nc_u32_e32 v104, 0x1c00, v167
	v_add_nc_u32_e32 v106, 0x3000, v167
	s_delay_alu instid0(VALU_DEP_4)
	v_dual_mul_f32 v98, v55, v19 :: v_dual_sub_f32 v89, v97, v108
	v_add_f32_e32 v55, v44, v48
	ds_load_2addr_b64 v[77:80], v100 offset0:140 offset1:239
	ds_load_2addr_b64 v[81:84], v104 offset0:94 offset1:193
	;; [unrolled: 1-line block ×3, first 2 shown]
	v_mul_lo_u16 v70, v64, 33
	v_mul_u32_u24_e32 v66, 0xf83f, v59
	v_lshrrev_b32_e32 v67, 21, v67
	v_and_b32_e32 v74, 0xffff, v74
	v_lshrrev_b32_e32 v65, 21, v65
	v_sub_nc_u16 v70, v4, v70
	v_lshrrev_b32_e32 v66, 21, v66
	v_mul_lo_u16 v73, v67, 33
	v_fmac_f32_e32 v90, v49, v20
	v_mul_lo_u16 v71, v65, 33
	v_lshlrev_b16 v93, 4, v70
	v_mul_lo_u16 v72, v66, 33
	v_sub_nc_u16 v73, v57, v73
	v_fmac_f32_e32 v95, v53, v22
	v_fma_f32 v51, v54, v18, -v98
	v_and_b32_e32 v93, 0xffff, v93
	v_sub_nc_u16 v71, v5, v71
	v_lshlrev_b16 v107, 4, v73
	v_mul_u32_u24_e32 v59, 0xa57f, v59
	v_mul_u32_u24_e32 v61, 0xa57f, v61
	v_lshrrev_b32_e32 v58, 22, v58
	v_lshlrev_b16 v94, 4, v71
	global_wb scope:SCOPE_SE
	s_wait_loadcnt_dscnt 0x0
	v_lshrrev_b32_e32 v59, 22, v59
	v_mul_f32_e32 v110, v81, v13
	v_mul_lo_u16 v63, 0xf9, v63
	v_mul_f32_e32 v109, v82, v13
	v_mul_lo_u16 v62, 0xf9, v62
	v_mul_f32_e32 v111, v86, v15
	v_mul_f32_e32 v113, v85, v15
	v_lshrrev_b16 v63, 13, v63
	v_fmac_f32_e32 v110, v82, v12
	v_lshrrev_b16 v62, 13, v62
	v_lshrrev_b32_e32 v61, 22, v61
	v_fmac_f32_e32 v113, v86, v14
	v_mul_lo_u16 v69, v63, 33
	v_and_b32_e32 v94, 0xffff, v94
	v_mul_lo_u16 v68, v62, 33
	v_mul_lo_u16 v59, 0x63, v59
	;; [unrolled: 1-line block ×3, first 2 shown]
	v_sub_nc_u16 v69, v76, v69
	v_mul_lo_u16 v61, 0x63, v61
	v_mul_f32_e32 v115, v83, v9
	v_dual_mul_f32 v117, v87, v11 :: v_dual_mul_f32 v114, v84, v9
	v_sub_nc_u16 v68, v168, v68
	v_and_b32_e32 v69, 0xff, v69
	s_delay_alu instid0(VALU_DEP_4) | instskip(NEXT) | instid1(VALU_DEP_4)
	v_fmac_f32_e32 v115, v84, v8
	v_fmac_f32_e32 v117, v88, v10
	v_lshlrev_b32_e32 v174, 3, v74
	v_mul_f32_e32 v116, v88, v11
	v_fma_f32 v54, v83, v8, -v114
	v_dual_sub_f32 v83, v90, v95 :: v_dual_and_b32 v68, 0xff, v68
	v_add_f32_e32 v84, v45, v90
	v_add_f32_e32 v88, v50, v51
	v_lshlrev_b32_e32 v92, 4, v69
	v_sub_f32_e32 v119, v115, v117
	v_add_f32_e32 v147, v80, v115
	v_add_f32_e32 v115, v115, v117
	v_dual_sub_f32 v96, v50, v51 :: v_dual_lshlrev_b32 v91, 4, v68
	v_sub_nc_u16 v5, v5, v58
	s_barrier_signal -1
	s_barrier_wait -1
	global_inv scope:SCOPE_SE
	v_lshrrev_b32_e32 v60, 22, v60
	s_delay_alu instid0(VALU_DEP_1)
	v_mul_lo_u16 v60, 0x63, v60
	v_mul_f32_e32 v152, v40, v31
	v_add_co_u32 v74, s2, s0, v93
	v_mul_f32_e32 v93, v53, v23
	v_fma_f32 v53, v85, v14, -v111
	v_sub_nc_u16 v72, v56, v72
	v_dual_add_f32 v85, v90, v95 :: v_dual_add_f32 v90, v47, v97
	s_delay_alu instid0(VALU_DEP_4) | instskip(SKIP_3) | instid1(VALU_DEP_4)
	v_fma_f32 v49, v52, v22, -v93
	v_fma_f32 v52, v81, v12, -v109
	v_and_b32_e32 v75, 0xffff, v75
	v_fma_f32 v81, v87, v10, -v116
	v_dual_add_f32 v87, v46, v50 :: v_dual_add_f32 v82, v48, v49
	s_delay_alu instid0(VALU_DEP_4) | instskip(SKIP_1) | instid1(VALU_DEP_3)
	v_dual_add_f32 v98, v52, v53 :: v_dual_add_f32 v93, v97, v108
	v_dual_add_f32 v97, v77, v52 :: v_dual_add_f32 v116, v79, v54
	v_dual_mul_f32 v149, v37, v29 :: v_dual_add_f32 v50, v87, v51
	v_dual_mul_f32 v151, v41, v31 :: v_dual_mul_f32 v154, v38, v25
	v_mul_f32_e32 v155, v43, v27
	v_dual_mul_f32 v156, v42, v27 :: v_dual_mul_f32 v153, v39, v25
	v_fmac_f32_e32 v80, -0.5, v115
	v_lshlrev_b16 v99, 4, v72
	v_dual_sub_f32 v114, v52, v53 :: v_dual_and_b32 v107, 0xffff, v107
	v_dual_sub_f32 v148, v54, v81 :: v_dual_lshlrev_b32 v173, 3, v75
	v_dual_sub_f32 v86, v48, v49 :: v_dual_add_f32 v111, v78, v110
	v_add_f32_e32 v118, v54, v81
	v_mul_f32_e32 v150, v36, v29
	v_dual_add_f32 v48, v55, v49 :: v_dual_add_f32 v49, v84, v95
	v_fma_f32 v44, -0.5, v82, v44
	v_fma_f32 v45, -0.5, v85, v45
	v_add_f32_e32 v52, v97, v53
	v_fma_f32 v54, -0.5, v98, v77
	v_dual_add_f32 v77, v116, v81 :: v_dual_fmac_f32 v154, v39, v24
	v_fma_f32 v81, v36, v28, -v149
	v_fma_f32 v82, v40, v30, -v151
	;; [unrolled: 1-line block ×4, first 2 shown]
	v_and_b32_e32 v99, 0xffff, v99
	v_sub_f32_e32 v109, v110, v113
	v_add_f32_e32 v110, v110, v113
	v_fma_f32 v46, -0.5, v88, v46
	v_dual_fmac_f32 v47, -0.5, v93 :: v_dual_fmac_f32 v150, v37, v28
	v_dual_add_f32 v53, v111, v113 :: v_dual_fmac_f32 v152, v41, v30
	v_fma_f32 v79, -0.5, v118, v79
	v_dual_fmac_f32 v156, v43, v26 :: v_dual_fmamk_f32 v37, v86, 0xbf5db3d7, v45
	v_dual_fmamk_f32 v36, v83, 0x3f5db3d7, v44 :: v_dual_fmac_f32 v45, 0x3f5db3d7, v86
	v_dual_fmamk_f32 v43, v148, 0xbf5db3d7, v80 :: v_dual_add_f32 v86, v81, v82
	v_add_f32_e32 v95, v84, v85
	v_fma_f32 v55, -0.5, v110, v78
	v_dual_fmac_f32 v44, 0xbf5db3d7, v83 :: v_dual_fmamk_f32 v39, v96, 0xbf5db3d7, v47
	v_dual_fmamk_f32 v38, v89, 0x3f5db3d7, v46 :: v_dual_fmac_f32 v47, 0x3f5db3d7, v96
	s_delay_alu instid0(VALU_DEP_3)
	v_dual_fmac_f32 v46, 0xbf5db3d7, v89 :: v_dual_fmamk_f32 v41, v114, 0xbf5db3d7, v55
	v_dual_fmamk_f32 v42, v119, 0x3f5db3d7, v79 :: v_dual_add_f32 v83, v32, v81
	v_dual_sub_f32 v87, v150, v152 :: v_dual_add_f32 v88, v33, v150
	v_add_f32_e32 v89, v150, v152
	v_add_f32_e32 v93, v34, v84
	v_sub_f32_e32 v96, v154, v156
	v_fma_f32 v32, -0.5, v86, v32
	v_fma_f32 v34, -0.5, v95, v34
	v_sub_nc_u16 v95, v56, v59
	v_mad_u16 v56, 0x63, v64, v70
	v_dual_add_f32 v97, v35, v154 :: v_dual_add_f32 v98, v154, v156
	v_dual_add_f32 v51, v90, v108 :: v_dual_add_f32 v78, v147, v117
	v_sub_f32_e32 v90, v81, v82
	v_dual_sub_f32 v108, v84, v85 :: v_dual_add_f32 v81, v83, v82
	v_add_f32_e32 v82, v88, v152
	v_fma_f32 v33, -0.5, v89, v33
	v_add_f32_e32 v83, v93, v85
	v_fmamk_f32 v85, v87, 0x3f5db3d7, v32
	v_fmac_f32_e32 v32, 0xbf5db3d7, v87
	v_fmamk_f32 v87, v96, 0x3f5db3d7, v34
	v_mad_u16 v58, 0x63, v66, v72
	v_and_b32_e32 v66, 0xffff, v56
	v_fmac_f32_e32 v34, 0xbf5db3d7, v96
	v_sub_nc_u16 v96, v57, v61
	v_mad_u16 v57, 0x63, v65, v71
	v_dual_add_f32 v84, v97, v156 :: v_dual_fmac_f32 v35, -0.5, v98
	s_wait_alu 0xf1ff
	v_add_co_ci_u32_e64 v75, null, s1, 0, s2
	v_fmamk_f32 v86, v90, 0xbf5db3d7, v33
	v_mad_u16 v59, 0x63, v67, v73
	v_and_b32_e32 v67, 0xffff, v57
	v_dual_fmac_f32 v33, 0x3f5db3d7, v90 :: v_dual_fmac_f32 v80, 0x3f5db3d7, v148
	v_fmamk_f32 v88, v108, 0xbf5db3d7, v35
	v_dual_fmac_f32 v35, 0x3f5db3d7, v108 :: v_dual_fmamk_f32 v40, v109, 0x3f5db3d7, v54
	v_fmac_f32_e32 v55, 0x3f5db3d7, v114
	v_dual_fmac_f32 v54, 0xbf5db3d7, v109 :: v_dual_fmac_f32 v79, 0xbf5db3d7, v119
	v_lshlrev_b32_e32 v185, 3, v66
	v_lshlrev_b32_e32 v183, 3, v67
	ds_store_2addr_b64 v176, v[81:82], v[85:86] offset1:11
	ds_store_b64 v176, v[32:33] offset:176
	ds_store_2addr_b64 v175, v[83:84], v[87:88] offset1:11
	ds_store_b64 v175, v[34:35] offset:176
	;; [unrolled: 2-line block ×6, first 2 shown]
	global_wb scope:SCOPE_SE
	s_wait_dscnt 0x0
	s_barrier_signal -1
	s_barrier_wait -1
	global_inv scope:SCOPE_SE
	s_clause 0x2
	global_load_b128 v[52:55], v91, s[0:1] offset:176
	global_load_b128 v[48:51], v92, s[0:1] offset:176
	global_load_b128 v[44:47], v[74:75], off offset:176
	v_add_co_u32 v32, s2, s0, v94
	s_wait_alu 0xf1ff
	v_add_co_ci_u32_e64 v33, null, s1, 0, s2
	v_add_co_u32 v34, s2, s0, v99
	s_wait_alu 0xf1ff
	v_add_co_ci_u32_e64 v35, null, s1, 0, s2
	global_load_b128 v[40:43], v[32:33], off offset:176
	v_add_co_u32 v32, s2, s0, v107
	s_wait_alu 0xf1ff
	v_add_co_ci_u32_e64 v33, null, s1, 0, s2
	s_clause 0x1
	global_load_b128 v[36:39], v[34:35], off offset:176
	global_load_b128 v[32:35], v[32:33], off offset:176
	v_lshlrev_b16 v64, 4, v95
	v_lshlrev_b16 v65, 4, v96
	v_and_b32_e32 v62, 0xffff, v62
	v_sub_nc_u16 v94, v4, v60
	v_lshlrev_b16 v61, 4, v5
	v_and_b32_e32 v99, 0xffff, v64
	v_and_b32_e32 v107, 0xffff, v65
	ds_load_2addr_b64 v[64:67], v102 offset0:24 offset1:123
	v_and_b32_e32 v63, 0xffff, v63
	v_mul_u32_u24_e32 v62, 0x63, v62
	v_lshlrev_b16 v60, 4, v94
	v_and_b32_e32 v98, 0xffff, v61
	v_lshlrev_b32_e32 v77, 4, v168
	v_lshlrev_b32_e32 v4, 4, v4
	v_add_lshl_u32 v184, v62, v68, 3
	v_and_b32_e32 v68, 0xffff, v58
	s_wait_loadcnt_dscnt 0x300
	v_dual_mul_f32 v118, v64, v45 :: v_dual_and_b32 v97, 0xffff, v60
	v_mul_u32_u24_e32 v63, 0x63, v63
	s_delay_alu instid0(VALU_DEP_2) | instskip(NEXT) | instid1(VALU_DEP_2)
	v_fmac_f32_e32 v118, v65, v44
	v_add_lshl_u32 v182, v63, v69, 3
	v_and_b32_e32 v69, 0xffff, v59
	ds_load_2addr_b64 v[56:59], v101 offset0:82 offset1:181
	s_wait_loadcnt 0x2
	v_mul_f32_e32 v148, v67, v41
	ds_load_2addr_b64 v[60:63], v105 offset0:36 offset1:135
	v_lshlrev_b32_e32 v177, 3, v69
	s_wait_dscnt 0x1
	v_mul_f32_e32 v113, v59, v49
	v_lshlrev_b32_e32 v181, 3, v68
	ds_load_2addr_b64 v[68:71], v112 offset0:106 offset1:205
	ds_load_2addr_b64 v[72:75], v167 offset1:99
	ds_load_2addr_b64 v[78:81], v103 offset0:70 offset1:169
	ds_load_2addr_b64 v[82:85], v100 offset0:140 offset1:239
	;; [unrolled: 1-line block ×4, first 2 shown]
	v_mul_f32_e32 v114, v58, v49
	s_wait_dscnt 0x6
	v_dual_mul_f32 v116, v62, v51 :: v_dual_mul_f32 v117, v65, v45
	v_mul_f32_e32 v108, v57, v53
	s_delay_alu instid0(VALU_DEP_3)
	v_dual_mul_f32 v109, v56, v53 :: v_dual_fmac_f32 v114, v59, v48
	v_mul_f32_e32 v110, v61, v55
	v_mul_f32_e32 v111, v60, v55
	;; [unrolled: 1-line block ×3, first 2 shown]
	v_fmac_f32_e32 v116, v63, v50
	v_fma_f32 v59, v64, v44, -v117
	v_fma_f32 v56, v56, v52, -v108
	v_fmac_f32_e32 v109, v57, v52
	v_fma_f32 v57, v60, v54, -v110
	s_wait_dscnt 0x5
	v_mul_f32_e32 v147, v68, v47
	v_mul_f32_e32 v119, v69, v47
	;; [unrolled: 1-line block ×3, first 2 shown]
	s_wait_dscnt 0x3
	v_add_f32_e32 v108, v78, v59
	s_wait_loadcnt_dscnt 0x101
	v_mul_f32_e32 v152, v87, v37
	s_wait_loadcnt 0x0
	v_mul_f32_e32 v156, v89, v33
	s_wait_dscnt 0x0
	v_mul_f32_e32 v158, v93, v35
	v_mul_f32_e32 v151, v70, v43
	;; [unrolled: 1-line block ×3, first 2 shown]
	v_fma_f32 v63, v86, v36, -v152
	v_fmac_f32_e32 v147, v69, v46
	v_mul_f32_e32 v157, v88, v33
	v_fma_f32 v64, v88, v32, -v156
	v_mul_f32_e32 v159, v92, v35
	v_dual_add_f32 v152, v82, v63 :: v_dual_fmac_f32 v111, v61, v54
	v_sub_f32_e32 v110, v118, v147
	v_mul_f32_e32 v149, v66, v41
	v_fma_f32 v61, v66, v40, -v148
	v_fma_f32 v66, v70, v42, -v150
	v_dual_add_f32 v70, v109, v111 :: v_dual_mul_f32 v153, v86, v37
	s_delay_alu instid0(VALU_DEP_4)
	v_fmac_f32_e32 v149, v67, v40
	v_mul_f32_e32 v155, v90, v39
	v_fma_f32 v86, v92, v34, -v158
	v_fma_f32 v58, v58, v48, -v113
	;; [unrolled: 1-line block ×3, first 2 shown]
	v_add_f32_e32 v148, v81, v149
	v_fma_f32 v62, v68, v46, -v119
	v_fma_f32 v68, v90, v38, -v154
	v_dual_add_f32 v67, v56, v57 :: v_dual_sub_f32 v90, v114, v116
	v_fmac_f32_e32 v157, v89, v32
	v_fmac_f32_e32 v155, v91, v38
	v_dual_add_f32 v91, v75, v114 :: v_dual_add_f32 v92, v114, v116
	v_dual_add_f32 v113, v79, v118 :: v_dual_add_f32 v114, v118, v147
	v_dual_add_f32 v118, v61, v66 :: v_dual_fmac_f32 v153, v87, v36
	v_sub_f32_e32 v150, v61, v66
	v_dual_sub_f32 v87, v109, v111 :: v_dual_add_f32 v162, v64, v86
	v_add_f32_e32 v117, v80, v61
	v_add_f32_e32 v65, v72, v56
	v_dual_fmac_f32 v159, v93, v34 :: v_dual_add_f32 v154, v63, v68
	v_dual_sub_f32 v88, v56, v57 :: v_dual_add_f32 v89, v58, v60
	v_add_f32_e32 v158, v83, v153
	v_sub_f32_e32 v160, v63, v68
	v_dual_add_f32 v164, v85, v157 :: v_dual_fmac_f32 v151, v71, v42
	v_sub_f32_e32 v156, v153, v155
	v_add_f32_e32 v66, v117, v66
	v_dual_add_f32 v71, v74, v58 :: v_dual_add_f32 v56, v65, v57
	v_add_f32_e32 v69, v73, v109
	v_fma_f32 v80, -0.5, v118, v80
	v_add_f32_e32 v161, v84, v64
	v_sub_f32_e32 v93, v58, v60
	v_fma_f32 v58, -0.5, v67, v72
	v_add_f32_e32 v109, v59, v62
	v_fma_f32 v84, -0.5, v162, v84
	v_sub_f32_e32 v165, v64, v86
	v_fmac_f32_e32 v75, -0.5, v92
	v_fma_f32 v65, -0.5, v114, v79
	v_fma_f32 v64, -0.5, v109, v78
	v_sub_f32_e32 v115, v59, v62
	v_add_f32_e32 v62, v108, v62
	v_fma_f32 v74, -0.5, v89, v74
	v_sub_f32_e32 v119, v149, v151
	v_add_f32_e32 v149, v149, v151
	v_fma_f32 v59, -0.5, v70, v73
	v_fma_f32 v70, -0.5, v154, v82
	v_sub_f32_e32 v163, v157, v159
	v_dual_add_f32 v157, v157, v159 :: v_dual_fmamk_f32 v82, v90, 0x3f5db3d7, v74
	v_dual_fmac_f32 v74, 0xbf5db3d7, v90 :: v_dual_add_f32 v153, v153, v155
	v_dual_add_f32 v60, v71, v60 :: v_dual_add_f32 v57, v69, v111
	v_fmamk_f32 v78, v87, 0x3f5db3d7, v58
	v_fmamk_f32 v79, v88, 0xbf5db3d7, v59
	v_dual_fmac_f32 v59, 0x3f5db3d7, v88 :: v_dual_fmamk_f32 v88, v119, 0x3f5db3d7, v80
	v_fma_f32 v71, -0.5, v153, v83
	v_fmac_f32_e32 v80, 0xbf5db3d7, v119
	v_add_f32_e32 v72, v161, v86
	v_fmamk_f32 v86, v110, 0x3f5db3d7, v64
	v_dual_fmac_f32 v64, 0xbf5db3d7, v110 :: v_dual_fmac_f32 v81, -0.5, v149
	v_fmamk_f32 v90, v156, 0x3f5db3d7, v70
	v_dual_fmac_f32 v70, 0xbf5db3d7, v156 :: v_dual_fmac_f32 v85, -0.5, v157
	v_fmac_f32_e32 v58, 0xbf5db3d7, v87
	v_add_f32_e32 v68, v152, v68
	v_add_f32_e32 v61, v91, v116
	v_fmamk_f32 v83, v93, 0xbf5db3d7, v75
	v_fmac_f32_e32 v75, 0x3f5db3d7, v93
	v_add_f32_e32 v63, v113, v147
	v_fmamk_f32 v87, v115, 0xbf5db3d7, v65
	global_wb scope:SCOPE_SE
	s_barrier_signal -1
	s_barrier_wait -1
	global_inv scope:SCOPE_SE
	v_add_f32_e32 v67, v148, v151
	v_add_f32_e32 v69, v158, v155
	;; [unrolled: 1-line block ×3, first 2 shown]
	v_fmac_f32_e32 v65, 0x3f5db3d7, v115
	v_fmamk_f32 v89, v150, 0xbf5db3d7, v81
	v_fmac_f32_e32 v81, 0x3f5db3d7, v150
	v_fmamk_f32 v91, v160, 0xbf5db3d7, v71
	v_dual_fmac_f32 v71, 0x3f5db3d7, v160 :: v_dual_fmamk_f32 v92, v163, 0x3f5db3d7, v84
	v_dual_fmac_f32 v84, 0xbf5db3d7, v163 :: v_dual_fmamk_f32 v93, v165, 0xbf5db3d7, v85
	v_fmac_f32_e32 v85, 0x3f5db3d7, v165
	ds_store_2addr_b64 v184, v[56:57], v[78:79] offset1:33
	ds_store_b64 v184, v[58:59] offset:528
	ds_store_2addr_b64 v182, v[60:61], v[82:83] offset1:33
	ds_store_b64 v182, v[74:75] offset:528
	;; [unrolled: 2-line block ×6, first 2 shown]
	v_add_co_u32 v56, s2, s0, v97
	s_wait_alu 0xf1ff
	v_add_co_ci_u32_e64 v57, null, s1, 0, s2
	v_add_co_u32 v58, s2, s0, v98
	s_wait_alu 0xf1ff
	v_add_co_ci_u32_e64 v59, null, s1, 0, s2
	global_wb scope:SCOPE_SE
	s_wait_dscnt 0x0
	s_barrier_signal -1
	s_barrier_wait -1
	global_inv scope:SCOPE_SE
	s_clause 0x2
	global_load_b128 v[72:75], v77, s[0:1] offset:704
	global_load_b128 v[68:71], v[56:57], off offset:704
	global_load_b128 v[64:67], v[58:59], off offset:704
	v_add_co_u32 v56, s2, s0, v99
	s_wait_alu 0xf1ff
	v_add_co_ci_u32_e64 v57, null, s1, 0, s2
	v_add_co_u32 v58, s2, s0, v107
	s_wait_alu 0xf1ff
	v_add_co_ci_u32_e64 v59, null, s1, 0, s2
	s_clause 0x1
	global_load_b128 v[60:63], v[56:57], off offset:704
	global_load_b128 v[56:59], v[58:59], off offset:704
	v_and_b32_e32 v82, 0xffff, v95
	v_and_b32_e32 v86, 0xffff, v96
	;; [unrolled: 1-line block ×3, first 2 shown]
	s_delay_alu instid0(VALU_DEP_3)
	v_lshlrev_b32_e32 v180, 3, v82
	ds_load_2addr_b64 v[82:85], v105 offset0:36 offset1:135
	v_lshlrev_b32_e32 v186, 3, v86
	ds_load_2addr_b64 v[86:89], v102 offset0:24 offset1:123
	;; [unrolled: 2-line block ×3, first 2 shown]
	ds_load_2addr_b64 v[90:93], v112 offset0:106 offset1:205
	ds_load_2addr_b64 v[94:97], v167 offset1:99
	ds_load_2addr_b64 v[107:110], v103 offset0:70 offset1:169
	ds_load_2addr_b64 v[113:116], v100 offset0:140 offset1:239
	ds_load_2addr_b64 v[147:150], v104 offset0:94 offset1:193
	ds_load_2addr_b64 v[151:154], v106 offset0:48 offset1:147
	global_wb scope:SCOPE_SE
	s_wait_loadcnt_dscnt 0x0
	s_barrier_signal -1
	s_barrier_wait -1
	global_inv scope:SCOPE_SE
	v_mul_f32_e32 v118, v82, v75
	v_mul_f32_e32 v160, v87, v69
	;; [unrolled: 1-line block ×3, first 2 shown]
	v_dual_mul_f32 v165, v88, v65 :: v_dual_mul_f32 v166, v93, v67
	s_delay_alu instid0(VALU_DEP_4) | instskip(SKIP_2) | instid1(VALU_DEP_4)
	v_fmac_f32_e32 v118, v83, v74
	v_mul_f32_e32 v156, v81, v73
	v_mul_f32_e32 v158, v85, v75
	v_fmac_f32_e32 v165, v89, v64
	v_mul_f32_e32 v117, v83, v75
	v_fma_f32 v83, v88, v64, -v164
	v_dual_mul_f32 v157, v80, v73 :: v_dual_mul_f32 v162, v91, v71
	v_mul_f32_e32 v188, v148, v61
	v_mul_f32_e32 v190, v152, v63
	v_fma_f32 v88, v92, v66, -v166
	v_mul_f32_e32 v159, v84, v75
	v_fmac_f32_e32 v157, v81, v72
	v_fma_f32 v81, v86, v68, -v160
	v_mul_f32_e32 v99, v78, v73
	v_mul_f32_e32 v98, v79, v73
	;; [unrolled: 1-line block ×3, first 2 shown]
	v_add_f32_e32 v164, v110, v165
	v_sub_f32_e32 v166, v83, v88
	v_fmac_f32_e32 v99, v79, v72
	v_fma_f32 v79, v80, v72, -v156
	v_fma_f32 v80, v82, v74, -v117
	v_fma_f32 v82, v84, v74, -v158
	v_fma_f32 v84, v90, v70, -v162
	v_fmac_f32_e32 v159, v85, v74
	v_fma_f32 v85, v147, v60, -v188
	v_mul_f32_e32 v163, v90, v71
	v_fma_f32 v90, v151, v62, -v190
	v_mul_f32_e32 v189, v147, v61
	v_mul_f32_e32 v192, v150, v57
	v_fma_f32 v78, v78, v72, -v98
	v_fma_f32 v98, v153, v58, -v194
	s_delay_alu instid0(VALU_DEP_4) | instskip(SKIP_1) | instid1(VALU_DEP_4)
	v_dual_sub_f32 v196, v85, v90 :: v_dual_fmac_f32 v189, v148, v60
	v_dual_mul_f32 v187, v92, v67 :: v_dual_add_f32 v188, v113, v85
	v_dual_add_f32 v190, v85, v90 :: v_dual_add_f32 v89, v78, v80
	s_delay_alu instid0(VALU_DEP_2) | instskip(NEXT) | instid1(VALU_DEP_3)
	v_dual_add_f32 v194, v114, v189 :: v_dual_fmac_f32 v187, v93, v66
	v_dual_add_f32 v90, v188, v90 :: v_dual_mul_f32 v161, v86, v69
	v_fma_f32 v86, v149, v56, -v192
	v_mul_f32_e32 v191, v151, v63
	v_add_f32_e32 v93, v96, v79
	s_delay_alu instid0(VALU_DEP_4) | instskip(NEXT) | instid1(VALU_DEP_4)
	v_dual_sub_f32 v162, v165, v187 :: v_dual_fmac_f32 v161, v87, v68
	v_sub_f32_e32 v201, v86, v98
	v_sub_f32_e32 v151, v79, v82
	v_add_f32_e32 v87, v94, v78
	v_mul_f32_e32 v193, v149, v57
	v_sub_f32_e32 v147, v78, v80
	v_add_f32_e32 v197, v115, v86
	v_add_f32_e32 v198, v86, v98
	;; [unrolled: 1-line block ×3, first 2 shown]
	v_fma_f32 v80, -0.5, v89, v94
	v_dual_fmac_f32 v191, v152, v62 :: v_dual_sub_f32 v158, v81, v84
	v_add_f32_e32 v94, v197, v98
	v_dual_add_f32 v160, v109, v83 :: v_dual_fmac_f32 v163, v91, v70
	s_delay_alu instid0(VALU_DEP_3) | instskip(SKIP_3) | instid1(VALU_DEP_4)
	v_dual_sub_f32 v192, v189, v191 :: v_dual_sub_f32 v117, v99, v118
	v_dual_add_f32 v92, v99, v118 :: v_dual_and_b32 v5, 0xffff, v5
	v_fmac_f32_e32 v193, v150, v56
	v_add_f32_e32 v91, v95, v99
	v_dual_add_f32 v99, v79, v82 :: v_dual_fmamk_f32 v98, v117, 0x3f5db3d7, v80
	v_dual_fmac_f32 v80, 0xbf5db3d7, v117 :: v_dual_mul_f32 v195, v153, v59
	s_delay_alu instid0(VALU_DEP_4) | instskip(NEXT) | instid1(VALU_DEP_3)
	v_add_f32_e32 v200, v116, v193
	v_fma_f32 v96, -0.5, v99, v96
	v_add_f32_e32 v152, v107, v81
	v_add_f32_e32 v79, v91, v118
	v_fmac_f32_e32 v195, v154, v58
	v_add_f32_e32 v189, v189, v191
	v_fma_f32 v115, -0.5, v198, v115
	v_add_f32_e32 v91, v194, v191
	s_delay_alu instid0(VALU_DEP_4) | instskip(SKIP_1) | instid1(VALU_DEP_1)
	v_sub_f32_e32 v199, v193, v195
	v_add_f32_e32 v193, v193, v195
	v_dual_fmac_f32 v116, -0.5, v193 :: v_dual_add_f32 v165, v165, v187
	v_add_f32_e32 v153, v81, v84
	v_fma_f32 v81, -0.5, v92, v95
	v_fma_f32 v92, -0.5, v190, v113
	v_add_f32_e32 v84, v152, v84
	v_fmac_f32_e32 v110, -0.5, v165
	v_dual_sub_f32 v148, v157, v159 :: v_dual_lshlrev_b32 v179, 3, v5
	v_dual_add_f32 v150, v157, v159 :: v_dual_lshlrev_b32 v5, 4, v76
	v_add_f32_e32 v149, v97, v157
	s_delay_alu instid0(VALU_DEP_3)
	v_add_nc_u32_e32 v111, 0x1800, v179
	v_fmamk_f32 v118, v166, 0xbf5db3d7, v110
	v_fmac_f32_e32 v110, 0x3f5db3d7, v166
	v_fmamk_f32 v99, v147, 0xbf5db3d7, v81
	v_fmac_f32_e32 v81, 0x3f5db3d7, v147
	;; [unrolled: 2-line block ×3, first 2 shown]
	v_add_f32_e32 v82, v93, v82
	v_add_f32_e32 v157, v161, v163
	v_dual_sub_f32 v154, v161, v163 :: v_dual_add_nc_u32 v119, 0x2400, v180
	v_dual_add_f32 v156, v108, v161 :: v_dual_add_nc_u32 v155, 0x2c00, v186
	v_add_f32_e32 v161, v83, v88
	v_fmac_f32_e32 v97, -0.5, v150
	v_fma_f32 v87, -0.5, v157, v108
	v_fmamk_f32 v150, v201, 0xbf5db3d7, v116
	v_fmac_f32_e32 v116, 0x3f5db3d7, v201
	v_fma_f32 v86, -0.5, v153, v107
	v_fma_f32 v109, -0.5, v161, v109
	;; [unrolled: 1-line block ×3, first 2 shown]
	v_add_f32_e32 v83, v149, v159
	v_fmamk_f32 v107, v148, 0x3f5db3d7, v96
	v_fmac_f32_e32 v96, 0xbf5db3d7, v148
	v_fmamk_f32 v108, v151, 0xbf5db3d7, v97
	v_fmac_f32_e32 v97, 0x3f5db3d7, v151
	v_add_nc_u32_e32 v76, 0x1000, v178
	v_add_f32_e32 v88, v160, v88
	v_add_f32_e32 v85, v156, v163
	v_fmamk_f32 v113, v154, 0x3f5db3d7, v86
	v_dual_fmamk_f32 v114, v158, 0xbf5db3d7, v87 :: v_dual_add_f32 v89, v164, v187
	v_fmac_f32_e32 v86, 0xbf5db3d7, v154
	v_fmac_f32_e32 v87, 0x3f5db3d7, v158
	v_fmamk_f32 v117, v162, 0x3f5db3d7, v109
	v_add_f32_e32 v95, v200, v195
	v_fmac_f32_e32 v109, 0xbf5db3d7, v162
	v_fmamk_f32 v148, v196, 0xbf5db3d7, v93
	v_fmac_f32_e32 v93, 0x3f5db3d7, v196
	v_fmamk_f32 v149, v199, 0x3f5db3d7, v115
	v_fmac_f32_e32 v115, 0xbf5db3d7, v199
	ds_store_2addr_b64 v167, v[78:79], v[98:99] offset1:99
	ds_store_2addr_b64 v103, v[80:81], v[82:83] offset0:70 offset1:169
	ds_store_2addr_b64 v100, v[107:108], v[96:97] offset0:140 offset1:239
	;; [unrolled: 1-line block ×6, first 2 shown]
	ds_store_b64 v178, v[86:87] offset:6336
	ds_store_b64 v179, v[109:110] offset:8712
	;; [unrolled: 1-line block ×4, first 2 shown]
	global_wb scope:SCOPE_SE
	s_wait_dscnt 0x0
	s_barrier_signal -1
	s_barrier_wait -1
	global_inv scope:SCOPE_SE
	s_clause 0x2
	global_load_b128 v[84:87], v77, s[0:1] offset:2288
	global_load_b128 v[80:83], v5, s[0:1] offset:2288
	;; [unrolled: 1-line block ×3, first 2 shown]
	ds_load_2addr_b64 v[88:91], v101 offset0:82 offset1:181
	ds_load_2addr_b64 v[92:95], v105 offset0:36 offset1:135
	ds_load_2addr_b64 v[96:99], v102 offset0:24 offset1:123
	ds_load_2addr_b64 v[107:110], v112 offset0:106 offset1:205
	ds_load_2addr_b64 v[113:116], v167 offset1:99
	ds_load_2addr_b64 v[147:150], v103 offset0:70 offset1:169
	ds_load_2addr_b64 v[151:154], v100 offset0:140 offset1:239
	;; [unrolled: 1-line block ×4, first 2 shown]
	global_wb scope:SCOPE_SE
	s_wait_loadcnt_dscnt 0x0
	s_barrier_signal -1
	s_barrier_wait -1
	global_inv scope:SCOPE_SE
	v_mul_f32_e32 v119, v90, v81
	v_mul_f32_e32 v4, v89, v85
	;; [unrolled: 1-line block ×6, first 2 shown]
	v_fma_f32 v4, v88, v84, -v4
	v_fmac_f32_e32 v166, v97, v76
	v_dual_fmac_f32 v198, v158, v76 :: v_dual_mul_f32 v165, v97, v77
	s_delay_alu instid0(VALU_DEP_3)
	v_dual_fmac_f32 v200, v162, v78 :: v_dual_add_f32 v97, v113, v4
	v_dual_mul_f32 v191, v110, v87 :: v_dual_mul_f32 v118, v91, v81
	v_mul_f32_e32 v189, v99, v85
	v_mul_f32_e32 v190, v98, v85
	;; [unrolled: 1-line block ×4, first 2 shown]
	v_dual_mul_f32 v196, v159, v83 :: v_dual_sub_f32 v205, v198, v200
	v_add_f32_e32 v206, v154, v198
	v_add_f32_e32 v198, v198, v200
	v_fmac_f32_e32 v119, v91, v80
	v_fma_f32 v91, v96, v76, -v165
	v_fma_f32 v96, v109, v86, -v191
	v_mul_f32_e32 v195, v160, v83
	v_dual_fmac_f32 v117, v93, v86 :: v_dual_fmac_f32 v190, v99, v84
	v_dual_fmac_f32 v192, v110, v86 :: v_dual_mul_f32 v5, v88, v85
	v_fma_f32 v88, v90, v80, -v118
	v_fmac_f32_e32 v194, v156, v80
	v_dual_fmac_f32 v196, v160, v82 :: v_dual_mul_f32 v111, v93, v87
	v_fma_f32 v93, v98, v84, -v189
	v_fma_f32 v98, v159, v82, -v195
	v_mul_f32_e32 v163, v95, v83
	v_mul_f32_e32 v164, v94, v83
	v_dual_mul_f32 v197, v158, v77 :: v_dual_add_f32 v110, v115, v88
	v_sub_f32_e32 v189, v190, v192
	s_delay_alu instid0(VALU_DEP_4) | instskip(SKIP_4) | instid1(VALU_DEP_4)
	v_fma_f32 v90, v94, v82, -v163
	v_mul_f32_e32 v193, v156, v81
	v_add_f32_e32 v191, v150, v190
	v_add_f32_e32 v190, v190, v192
	v_dual_mul_f32 v199, v162, v79 :: v_dual_fmac_f32 v164, v95, v82
	v_fma_f32 v94, v155, v80, -v193
	v_fma_f32 v95, v157, v76, -v197
	s_delay_alu instid0(VALU_DEP_4) | instskip(NEXT) | instid1(VALU_DEP_4)
	v_fmac_f32_e32 v150, -0.5, v190
	v_fma_f32 v109, v161, v78, -v199
	v_mul_f32_e32 v187, v108, v79
	v_mul_f32_e32 v188, v107, v79
	v_add_f32_e32 v195, v151, v94
	v_fmac_f32_e32 v5, v89, v84
	v_sub_f32_e32 v199, v194, v196
	v_dual_add_f32 v201, v152, v194 :: v_dual_add_f32 v194, v194, v196
	v_fma_f32 v89, v92, v86, -v111
	v_add_f32_e32 v204, v95, v109
	v_fma_f32 v92, v107, v78, -v187
	v_fmac_f32_e32 v188, v108, v78
	v_sub_f32_e32 v158, v88, v90
	v_add_f32_e32 v197, v94, v98
	v_sub_f32_e32 v202, v94, v98
	v_add_f32_e32 v160, v91, v92
	v_sub_f32_e32 v161, v166, v188
	v_sub_f32_e32 v207, v95, v109
	v_add_f32_e32 v98, v195, v98
	v_dual_fmac_f32 v154, -0.5, v198 :: v_dual_add_f32 v163, v166, v188
	v_fma_f32 v94, -0.5, v160, v147
	v_add_f32_e32 v155, v88, v90
	v_add_f32_e32 v88, v110, v90
	;; [unrolled: 1-line block ×4, first 2 shown]
	v_sub_f32_e32 v156, v119, v164
	v_add_f32_e32 v162, v148, v166
	v_add_f32_e32 v166, v149, v93
	;; [unrolled: 1-line block ×3, first 2 shown]
	v_sub_f32_e32 v193, v93, v96
	v_add_f32_e32 v203, v153, v95
	v_fma_f32 v93, -0.5, v108, v114
	v_fma_f32 v95, -0.5, v163, v148
	;; [unrolled: 1-line block ×3, first 2 shown]
	v_sub_f32_e32 v165, v91, v92
	v_add_f32_e32 v157, v116, v119
	v_dual_add_f32 v119, v119, v164 :: v_dual_fmamk_f32 v152, v193, 0xbf5db3d7, v150
	v_sub_f32_e32 v118, v4, v89
	v_add_f32_e32 v99, v4, v89
	v_dual_add_f32 v159, v147, v91 :: v_dual_fmac_f32 v150, 0x3f5db3d7, v193
	s_delay_alu instid0(VALU_DEP_4) | instskip(NEXT) | instid1(VALU_DEP_2)
	v_dual_fmac_f32 v116, -0.5, v119 :: v_dual_add_f32 v107, v114, v5
	v_dual_sub_f32 v111, v5, v117 :: v_dual_add_f32 v90, v159, v92
	v_fmamk_f32 v114, v118, 0xbf5db3d7, v93
	v_fma_f32 v92, -0.5, v99, v113
	v_fmamk_f32 v147, v161, 0x3f5db3d7, v94
	v_fmac_f32_e32 v94, 0xbf5db3d7, v161
	v_fma_f32 v115, -0.5, v155, v115
	v_fma_f32 v153, -0.5, v204, v153
	v_fmac_f32_e32 v93, 0x3f5db3d7, v118
	v_fmamk_f32 v118, v158, 0xbf5db3d7, v116
	v_dual_fmac_f32 v116, 0x3f5db3d7, v158 :: v_dual_add_f32 v5, v107, v117
	v_fma_f32 v107, -0.5, v197, v151
	v_fmamk_f32 v158, v207, 0xbf5db3d7, v154
	v_fmac_f32_e32 v154, 0x3f5db3d7, v207
	v_fma_f32 v149, -0.5, v187, v149
	v_fmamk_f32 v113, v111, 0x3f5db3d7, v92
	v_fmac_f32_e32 v92, 0xbf5db3d7, v111
	v_dual_add_f32 v4, v97, v89 :: v_dual_fmamk_f32 v117, v156, 0x3f5db3d7, v115
	v_dual_fmac_f32 v115, 0xbf5db3d7, v156 :: v_dual_fmamk_f32 v156, v202, 0xbf5db3d7, v108
	v_fmamk_f32 v148, v165, 0xbf5db3d7, v95
	v_add_f32_e32 v89, v157, v164
	v_add_f32_e32 v99, v201, v196
	;; [unrolled: 1-line block ×4, first 2 shown]
	v_fmamk_f32 v151, v189, 0x3f5db3d7, v149
	v_fmac_f32_e32 v149, 0xbf5db3d7, v189
	v_fmamk_f32 v155, v199, 0x3f5db3d7, v107
	v_fmamk_f32 v157, v205, 0x3f5db3d7, v153
	v_dual_fmac_f32 v153, 0xbf5db3d7, v205 :: v_dual_add_f32 v96, v166, v96
	v_add_f32_e32 v97, v191, v192
	v_fmac_f32_e32 v95, 0x3f5db3d7, v165
	v_fmac_f32_e32 v107, 0xbf5db3d7, v199
	;; [unrolled: 1-line block ×3, first 2 shown]
	ds_store_2addr_b64 v167, v[4:5], v[88:89] offset1:99
	ds_store_2addr_b64 v104, v[98:99], v[109:110] offset0:94 offset1:193
	ds_store_2addr_b64 v101, v[92:93], v[115:116] offset0:82 offset1:181
	ds_store_2addr_b64 v103, v[90:91], v[113:114] offset0:70 offset1:169
	ds_store_2addr_b64 v100, v[117:118], v[147:148] offset0:140 offset1:239
	ds_store_2addr_b64 v102, v[94:95], v[96:97] offset0:24 offset1:123
	ds_store_2addr_b64 v105, v[151:152], v[155:156] offset0:36 offset1:135
	ds_store_2addr_b64 v112, v[157:158], v[149:150] offset0:106 offset1:205
	ds_store_2addr_b64 v106, v[107:108], v[153:154] offset0:48 offset1:147
	global_wb scope:SCOPE_SE
	s_wait_dscnt 0x0
	s_barrier_signal -1
	s_barrier_wait -1
	global_inv scope:SCOPE_SE
	s_clause 0x8
	global_load_b64 v[157:158], v167, s[0:1] offset:7040
	global_load_b64 v[159:160], v167, s[0:1] offset:7832
	;; [unrolled: 1-line block ×9, first 2 shown]
	ds_load_2addr_b64 v[94:97], v102 offset0:24 offset1:123
	ds_load_2addr_b64 v[88:91], v104 offset0:94 offset1:193
	;; [unrolled: 1-line block ×5, first 2 shown]
	ds_load_2addr_b64 v[191:194], v167 offset1:99
	ds_load_2addr_b64 v[195:198], v103 offset0:70 offset1:169
	ds_load_2addr_b64 v[199:202], v100 offset0:140 offset1:239
	;; [unrolled: 1-line block ×3, first 2 shown]
	s_add_nc_u64 s[0:1], s[12:13], 0x37b0
	s_wait_loadcnt_dscnt 0x808
	v_mul_f32_e32 v4, v97, v158
	s_wait_loadcnt_dscnt 0x707
	v_mul_f32_e32 v5, v89, v160
	v_mul_f32_e32 v92, v88, v160
	s_wait_loadcnt 0x6
	v_mul_f32_e32 v93, v91, v164
	s_wait_loadcnt_dscnt 0x506
	v_dual_mul_f32 v98, v90, v164 :: v_dual_mul_f32 v99, v108, v154
	s_wait_loadcnt_dscnt 0x305
	v_mul_f32_e32 v119, v114, v150
	v_mul_f32_e32 v165, v113, v150
	;; [unrolled: 1-line block ×6, first 2 shown]
	s_wait_loadcnt 0x2
	v_mul_f32_e32 v166, v116, v152
	v_mul_f32_e32 v207, v115, v152
	s_wait_loadcnt_dscnt 0x104
	v_mul_f32_e32 v209, v188, v156
	v_mul_f32_e32 v210, v187, v156
	s_wait_loadcnt 0x0
	v_mul_f32_e32 v211, v190, v148
	v_mul_f32_e32 v212, v189, v148
	v_fma_f32 v5, v88, v159, -v5
	v_fmac_f32_e32 v92, v89, v159
	v_fma_f32 v88, v90, v163, -v93
	v_fmac_f32_e32 v98, v91, v163
	v_fma_f32 v89, v107, v153, -v99
	v_fma_f32 v91, v113, v149, -v119
	v_fmac_f32_e32 v165, v114, v149
	v_fma_f32 v4, v96, v157, -v4
	v_fmac_f32_e32 v208, v97, v157
	v_fmac_f32_e32 v111, v108, v153
	v_fma_f32 v90, v109, v161, -v117
	v_fmac_f32_e32 v118, v110, v161
	v_fma_f32 v93, v115, v151, -v166
	;; [unrolled: 2-line block ×4, first 2 shown]
	s_wait_dscnt 0x3
	v_dual_fmac_f32 v212, v190, v147 :: v_dual_sub_f32 v107, v191, v4
	v_dual_sub_f32 v108, v192, v208 :: v_dual_sub_f32 v109, v193, v5
	v_sub_f32_e32 v110, v194, v92
	s_wait_dscnt 0x2
	v_dual_sub_f32 v113, v195, v88 :: v_dual_sub_f32 v114, v196, v98
	v_sub_f32_e32 v115, v197, v89
	s_wait_dscnt 0x1
	v_dual_sub_f32 v88, v201, v91 :: v_dual_sub_f32 v89, v202, v165
	v_dual_sub_f32 v116, v198, v111 :: v_dual_sub_f32 v117, v199, v90
	v_sub_f32_e32 v118, v200, v118
	s_wait_dscnt 0x0
	v_dual_sub_f32 v96, v203, v93 :: v_dual_sub_f32 v97, v204, v207
	v_dual_sub_f32 v92, v205, v99 :: v_dual_sub_f32 v93, v206, v210
	;; [unrolled: 1-line block ×3, first 2 shown]
	v_fma_f32 v165, v191, 2.0, -v107
	v_fma_f32 v166, v192, 2.0, -v108
	;; [unrolled: 1-line block ×18, first 2 shown]
	ds_store_2addr_b64 v104, v[109:110], v[113:114] offset0:94 offset1:193
	ds_store_2addr_b64 v105, v[115:116], v[117:118] offset0:36 offset1:135
	;; [unrolled: 1-line block ×4, first 2 shown]
	ds_store_2addr_b64 v167, v[165:166], v[187:188] offset1:99
	ds_store_2addr_b64 v103, v[189:190], v[191:192] offset0:70 offset1:169
	ds_store_2addr_b64 v100, v[193:194], v[195:196] offset0:140 offset1:239
	;; [unrolled: 1-line block ×4, first 2 shown]
	global_wb scope:SCOPE_SE
	s_wait_dscnt 0x0
	s_barrier_signal -1
	s_barrier_wait -1
	global_inv scope:SCOPE_SE
	s_clause 0xa
	global_load_b64 v[101:102], v[120:121], off offset:14256
	global_load_b64 v[109:110], v167, s[0:1] offset:1296
	global_load_b64 v[117:118], v167, s[0:1] offset:2592
	global_load_b64 v[165:166], v167, s[0:1] offset:3888
	global_load_b64 v[195:196], v167, s[0:1] offset:5184
	global_load_b64 v[197:198], v167, s[0:1] offset:6480
	global_load_b64 v[199:200], v167, s[0:1] offset:7776
	global_load_b64 v[201:202], v167, s[0:1] offset:9072
	global_load_b64 v[203:204], v167, s[0:1] offset:10368
	global_load_b64 v[205:206], v167, s[0:1] offset:11664
	global_load_b64 v[207:208], v167, s[0:1] offset:12960
	ds_load_2addr_b64 v[105:108], v167 offset1:162
	s_wait_loadcnt_dscnt 0xa00
	v_mul_f32_e32 v113, v106, v102
	v_mul_f32_e32 v103, v105, v102
	s_wait_loadcnt 0x9
	v_mul_f32_e32 v114, v108, v110
	v_mul_f32_e32 v111, v107, v110
	v_fma_f32 v102, v105, v101, -v113
	v_fmac_f32_e32 v103, v106, v101
	s_delay_alu instid0(VALU_DEP_4) | instskip(NEXT) | instid1(VALU_DEP_4)
	v_fma_f32 v110, v107, v109, -v114
	v_fmac_f32_e32 v111, v108, v109
	v_add_nc_u32_e32 v101, 0x1400, v167
	ds_store_2addr_b64 v167, v[102:103], v[110:111] offset1:162
	ds_load_2addr_b64 v[105:108], v100 offset0:68 offset1:230
	ds_load_2addr_b64 v[113:116], v101 offset0:8 offset1:170
	;; [unrolled: 1-line block ×4, first 2 shown]
	ds_load_b64 v[102:103], v167 offset:12960
	s_wait_loadcnt_dscnt 0x804
	v_mul_f32_e32 v109, v106, v118
	v_mul_f32_e32 v110, v105, v118
	s_wait_loadcnt 0x7
	v_mul_f32_e32 v111, v108, v166
	s_wait_loadcnt_dscnt 0x603
	v_dual_mul_f32 v118, v107, v166 :: v_dual_mul_f32 v119, v114, v196
	s_wait_loadcnt 0x5
	v_dual_mul_f32 v166, v113, v196 :: v_dual_mul_f32 v209, v116, v198
	v_mul_f32_e32 v196, v115, v198
	s_wait_loadcnt_dscnt 0x402
	v_mul_f32_e32 v210, v188, v200
	s_wait_loadcnt 0x3
	v_dual_mul_f32 v198, v187, v200 :: v_dual_mul_f32 v211, v190, v202
	v_mul_f32_e32 v200, v189, v202
	s_wait_loadcnt_dscnt 0x201
	v_mul_f32_e32 v212, v192, v204
	;; [unrolled: 5-line block ×3, first 2 shown]
	v_mul_f32_e32 v206, v102, v208
	v_fma_f32 v109, v105, v117, -v109
	v_fmac_f32_e32 v110, v106, v117
	v_fma_f32 v117, v107, v165, -v111
	v_fmac_f32_e32 v118, v108, v165
	v_fmac_f32_e32 v206, v103, v207
	v_fma_f32 v165, v113, v195, -v119
	v_fmac_f32_e32 v166, v114, v195
	v_fma_f32 v195, v115, v197, -v209
	;; [unrolled: 2-line block ×7, first 2 shown]
	ds_store_2addr_b64 v100, v[109:110], v[117:118] offset0:68 offset1:230
	ds_store_2addr_b64 v101, v[165:166], v[195:196] offset0:8 offset1:170
	;; [unrolled: 1-line block ×4, first 2 shown]
	ds_store_b64 v167, v[205:206] offset:12960
	s_and_saveexec_b32 s2, vcc_lo
	s_cbranch_execz .LBB0_9
; %bb.8:
	s_wait_alu 0xfffe
	v_add_co_u32 v102, s0, s0, v167
	s_wait_alu 0xf1ff
	v_add_co_ci_u32_e64 v103, null, s1, 0, s0
	s_clause 0xa
	global_load_b64 v[109:110], v[102:103], off offset:792
	global_load_b64 v[113:114], v[102:103], off offset:2088
	;; [unrolled: 1-line block ×11, first 2 shown]
	v_add_nc_u32_e32 v116, 0x200, v167
	v_add_nc_u32_e32 v211, 0x1600, v167
	;; [unrolled: 1-line block ×4, first 2 shown]
	ds_load_2addr_b64 v[105:108], v116 offset0:35 offset1:197
	s_wait_loadcnt_dscnt 0xa00
	v_mul_f32_e32 v119, v106, v110
	v_mul_f32_e32 v111, v105, v110
	s_wait_loadcnt 0x9
	v_mul_f32_e32 v187, v108, v114
	v_mul_f32_e32 v115, v107, v114
	v_fma_f32 v110, v105, v109, -v119
	v_fmac_f32_e32 v111, v106, v109
	s_delay_alu instid0(VALU_DEP_4) | instskip(NEXT) | instid1(VALU_DEP_4)
	v_fma_f32 v114, v107, v113, -v187
	v_fmac_f32_e32 v115, v108, v113
	ds_store_2addr_b64 v116, v[110:111], v[114:115] offset0:35 offset1:197
	ds_load_2addr_b64 v[105:108], v210 offset0:39 offset1:201
	v_add_nc_u32_e32 v111, 0x2000, v167
	ds_load_2addr_b64 v[113:116], v211 offset0:43 offset1:205
	ds_load_2addr_b64 v[187:190], v111 offset0:47 offset1:209
	;; [unrolled: 1-line block ×3, first 2 shown]
	ds_load_b64 v[109:110], v167 offset:13752
	s_wait_loadcnt_dscnt 0x804
	v_mul_f32_e32 v119, v105, v118
	v_mul_f32_e32 v208, v106, v118
	s_wait_loadcnt 0x7
	v_mul_f32_e32 v213, v108, v166
	s_wait_loadcnt_dscnt 0x603
	v_dual_mul_f32 v207, v107, v166 :: v_dual_mul_f32 v214, v114, v196
	s_wait_loadcnt_dscnt 0x201
	v_mul_f32_e32 v218, v192, v204
	v_dual_mul_f32 v166, v113, v196 :: v_dual_mul_f32 v215, v116, v198
	s_wait_loadcnt_dscnt 0x0
	v_mul_f32_e32 v220, v110, v103
	v_mul_f32_e32 v196, v115, v198
	;; [unrolled: 1-line block ×3, first 2 shown]
	v_dual_mul_f32 v198, v187, v200 :: v_dual_mul_f32 v217, v190, v202
	v_dual_mul_f32 v200, v189, v202 :: v_dual_fmac_f32 v119, v106, v117
	v_dual_mul_f32 v202, v191, v204 :: v_dual_mul_f32 v219, v194, v206
	s_delay_alu instid0(VALU_DEP_3) | instskip(SKIP_1) | instid1(VALU_DEP_4)
	v_fmac_f32_e32 v198, v188, v199
	v_dual_mul_f32 v204, v193, v206 :: v_dual_fmac_f32 v207, v108, v165
	v_dual_mul_f32 v209, v109, v103 :: v_dual_fmac_f32 v200, v190, v201
	v_fma_f32 v118, v105, v117, -v208
	v_fma_f32 v206, v107, v165, -v213
	;; [unrolled: 1-line block ×3, first 2 shown]
	v_fmac_f32_e32 v166, v114, v195
	v_fma_f32 v195, v115, v197, -v215
	v_fmac_f32_e32 v196, v116, v197
	v_fma_f32 v197, v187, v199, -v216
	v_fma_f32 v199, v189, v201, -v217
	;; [unrolled: 1-line block ×3, first 2 shown]
	v_dual_fmac_f32 v202, v192, v203 :: v_dual_fmac_f32 v209, v110, v102
	v_fma_f32 v203, v193, v205, -v219
	v_fmac_f32_e32 v204, v194, v205
	v_fma_f32 v208, v109, v102, -v220
	ds_store_2addr_b64 v210, v[118:119], v[206:207] offset0:39 offset1:201
	ds_store_2addr_b64 v211, v[165:166], v[195:196] offset0:43 offset1:205
	;; [unrolled: 1-line block ×4, first 2 shown]
	ds_store_b64 v167, v[208:209] offset:13752
.LBB0_9:
	s_wait_alu 0xfffe
	s_or_b32 exec_lo, exec_lo, s2
	global_wb scope:SCOPE_SE
	s_wait_dscnt 0x0
	s_barrier_signal -1
	s_barrier_wait -1
	global_inv scope:SCOPE_SE
	ds_load_2addr_b64 v[116:119], v167 offset1:162
	ds_load_2addr_b64 v[108:111], v100 offset0:68 offset1:230
	ds_load_2addr_b64 v[100:103], v101 offset0:8 offset1:170
	;; [unrolled: 1-line block ×4, first 2 shown]
	ds_load_b64 v[165:166], v167 offset:12960
	s_and_saveexec_b32 s0, vcc_lo
	s_cbranch_execz .LBB0_11
; %bb.10:
	v_add_nc_u32_e32 v0, 0x200, v167
	v_add_nc_u32_e32 v1, 0xc00, v167
	;; [unrolled: 1-line block ×5, first 2 shown]
	ds_load_2addr_b64 v[88:91], v0 offset0:35 offset1:197
	ds_load_2addr_b64 v[96:99], v1 offset0:39 offset1:201
	;; [unrolled: 1-line block ×5, first 2 shown]
	ds_load_b64 v[145:146], v167 offset:13752
.LBB0_11:
	s_wait_alu 0xfffe
	s_or_b32 exec_lo, exec_lo, s0
	s_wait_dscnt 0x5
	v_dual_add_f32 v187, v116, v118 :: v_dual_add_f32 v188, v117, v119
	s_wait_dscnt 0x0
	v_add_f32_e32 v189, v165, v118
	v_dual_sub_f32 v190, v119, v166 :: v_dual_add_f32 v191, v166, v119
	s_delay_alu instid0(VALU_DEP_3) | instskip(SKIP_1) | instid1(VALU_DEP_3)
	v_dual_add_f32 v187, v187, v108 :: v_dual_sub_f32 v192, v118, v165
	v_add_f32_e32 v188, v188, v109
	v_mul_f32_e32 v118, 0xbf0a6770, v190
	s_delay_alu instid0(VALU_DEP_3) | instskip(SKIP_1) | instid1(VALU_DEP_4)
	v_dual_sub_f32 v206, v109, v115 :: v_dual_add_f32 v119, v187, v110
	v_add_f32_e32 v109, v115, v109
	v_add_f32_e32 v187, v188, v111
	v_mul_f32_e32 v188, 0x3f575c64, v191
	s_delay_alu instid0(VALU_DEP_4) | instskip(NEXT) | instid1(VALU_DEP_3)
	v_dual_mul_f32 v194, 0x3ed4b147, v191 :: v_dual_add_f32 v119, v119, v100
	v_dual_mul_f32 v196, 0xbe11bafb, v191 :: v_dual_add_f32 v187, v187, v101
	v_mul_f32_e32 v193, 0xbf68dda4, v190
	v_fmamk_f32 v197, v189, 0x3f575c64, v118
	s_delay_alu instid0(VALU_DEP_4) | instskip(NEXT) | instid1(VALU_DEP_4)
	v_dual_add_f32 v119, v119, v102 :: v_dual_fmamk_f32 v198, v192, 0x3f0a6770, v188
	v_dual_add_f32 v187, v187, v103 :: v_dual_fmac_f32 v188, 0xbf0a6770, v192
	v_fma_f32 v118, 0x3f575c64, v189, -v118
	s_delay_alu instid0(VALU_DEP_3) | instskip(NEXT) | instid1(VALU_DEP_3)
	v_dual_add_f32 v119, v119, v104 :: v_dual_fmamk_f32 v200, v192, 0x3f68dda4, v194
	v_dual_add_f32 v187, v187, v105 :: v_dual_add_f32 v198, v117, v198
	s_delay_alu instid0(VALU_DEP_2) | instskip(NEXT) | instid1(VALU_DEP_2)
	v_dual_fmac_f32 v194, 0xbf68dda4, v192 :: v_dual_add_f32 v119, v119, v106
	v_dual_add_f32 v202, v116, v118 :: v_dual_add_f32 v187, v187, v107
	v_dual_mul_f32 v195, 0xbf7d64f0, v190 :: v_dual_add_f32 v188, v117, v188
	s_delay_alu instid0(VALU_DEP_3) | instskip(SKIP_1) | instid1(VALU_DEP_4)
	v_add_f32_e32 v119, v119, v112
	v_fmamk_f32 v199, v189, 0x3ed4b147, v193
	v_add_f32_e32 v187, v187, v113
	v_add_f32_e32 v197, v116, v197
	v_fma_f32 v193, 0x3ed4b147, v189, -v193
	v_add_f32_e32 v118, v119, v114
	global_wb scope:SCOPE_SE
	v_add_f32_e32 v119, v187, v115
	v_add_f32_e32 v115, v114, v108
	s_barrier_signal -1
	v_dual_add_f32 v118, v118, v165 :: v_dual_add_f32 v165, v117, v194
	s_delay_alu instid0(VALU_DEP_3) | instskip(SKIP_3) | instid1(VALU_DEP_4)
	v_dual_add_f32 v119, v119, v166 :: v_dual_fmamk_f32 v166, v192, 0x3f7d64f0, v196
	v_dual_fmac_f32 v196, 0xbf7d64f0, v192 :: v_dual_add_f32 v187, v116, v199
	v_dual_add_f32 v199, v117, v200 :: v_dual_mul_f32 v200, 0xbf4178ce, v190
	v_mul_f32_e32 v190, 0xbe903f40, v190
	v_add_f32_e32 v166, v117, v166
	v_sub_f32_e32 v108, v108, v114
	v_mul_f32_e32 v114, 0x3ed4b147, v109
	v_fmamk_f32 v203, v189, 0xbf27a4f4, v200
	v_fma_f32 v200, 0xbf27a4f4, v189, -v200
	v_fmamk_f32 v201, v189, 0xbe11bafb, v195
	v_fma_f32 v195, 0xbe11bafb, v189, -v195
	;; [unrolled: 2-line block ×3, first 2 shown]
	v_add_f32_e32 v200, v116, v200
	v_dual_add_f32 v194, v116, v201 :: v_dual_mul_f32 v201, 0xbf27a4f4, v191
	v_mul_f32_e32 v191, 0xbf75a155, v191
	v_dual_add_f32 v203, v116, v203 :: v_dual_add_f32 v196, v117, v196
	s_barrier_wait -1
	s_delay_alu instid0(VALU_DEP_3) | instskip(NEXT) | instid1(VALU_DEP_3)
	v_fmamk_f32 v204, v192, 0x3f4178ce, v201
	v_fmamk_f32 v207, v192, 0x3e903f40, v191
	v_dual_add_f32 v195, v116, v195 :: v_dual_mul_f32 v190, 0xbf68dda4, v206
	v_fmac_f32_e32 v201, 0xbf4178ce, v192
	s_delay_alu instid0(VALU_DEP_3) | instskip(SKIP_1) | instid1(VALU_DEP_4)
	v_dual_fmac_f32 v191, 0xbe903f40, v192 :: v_dual_add_f32 v192, v117, v207
	v_dual_add_f32 v193, v116, v193 :: v_dual_add_f32 v204, v117, v204
	v_fmamk_f32 v207, v115, 0x3ed4b147, v190
	v_fma_f32 v190, 0x3ed4b147, v115, -v190
	v_add_f32_e32 v201, v117, v201
	global_inv scope:SCOPE_SE
	v_dual_add_f32 v197, v207, v197 :: v_dual_add_f32 v190, v190, v202
	v_add_f32_e32 v205, v116, v205
	v_add_f32_e32 v116, v116, v189
	v_fmamk_f32 v189, v108, 0x3f68dda4, v114
	v_fmac_f32_e32 v114, 0xbf68dda4, v108
	v_mul_f32_e32 v207, 0xbf27a4f4, v109
	s_delay_alu instid0(VALU_DEP_2) | instskip(SKIP_2) | instid1(VALU_DEP_1)
	v_dual_add_f32 v189, v189, v198 :: v_dual_add_f32 v114, v114, v188
	v_dual_mul_f32 v188, 0x3e903f40, v206 :: v_dual_add_f32 v117, v117, v191
	v_mul_f32_e32 v191, 0xbf4178ce, v206
	v_fmamk_f32 v198, v115, 0xbf27a4f4, v191
	s_delay_alu instid0(VALU_DEP_1) | instskip(SKIP_3) | instid1(VALU_DEP_4)
	v_dual_add_f32 v187, v198, v187 :: v_dual_fmamk_f32 v198, v108, 0x3f4178ce, v207
	v_mul_f32_e32 v208, 0xbf75a155, v109
	v_fmamk_f32 v202, v115, 0xbf75a155, v188
	v_fma_f32 v188, 0xbf75a155, v115, -v188
	v_dual_add_f32 v198, v198, v199 :: v_dual_mul_f32 v199, 0x3f7d64f0, v206
	v_mul_f32_e32 v206, 0x3f0a6770, v206
	s_delay_alu instid0(VALU_DEP_3) | instskip(SKIP_1) | instid1(VALU_DEP_1)
	v_add_f32_e32 v188, v188, v195
	v_fma_f32 v191, 0xbf27a4f4, v115, -v191
	v_add_f32_e32 v191, v191, v193
	v_dual_add_f32 v193, v202, v194 :: v_dual_fmamk_f32 v194, v108, 0xbe903f40, v208
	v_fmac_f32_e32 v208, 0x3e903f40, v108
	v_mul_f32_e32 v202, 0xbe11bafb, v109
	s_delay_alu instid0(VALU_DEP_3) | instskip(SKIP_1) | instid1(VALU_DEP_4)
	v_dual_mul_f32 v109, 0x3f575c64, v109 :: v_dual_add_f32 v166, v194, v166
	v_fmamk_f32 v194, v115, 0xbe11bafb, v199
	v_add_f32_e32 v196, v208, v196
	v_fmac_f32_e32 v207, 0xbf4178ce, v108
	v_fma_f32 v199, 0xbe11bafb, v115, -v199
	s_delay_alu instid0(VALU_DEP_4) | instskip(SKIP_2) | instid1(VALU_DEP_4)
	v_dual_fmamk_f32 v195, v108, 0xbf7d64f0, v202 :: v_dual_add_f32 v194, v194, v203
	v_fmac_f32_e32 v202, 0x3f7d64f0, v108
	v_fmamk_f32 v203, v115, 0x3f575c64, v206
	v_add_f32_e32 v199, v199, v200
	v_sub_f32_e32 v200, v111, v113
	v_add_f32_e32 v165, v207, v165
	v_add_f32_e32 v111, v113, v111
	;; [unrolled: 1-line block ×3, first 2 shown]
	v_dual_add_f32 v202, v203, v205 :: v_dual_fmamk_f32 v203, v108, 0xbf0a6770, v109
	v_fma_f32 v113, 0x3f575c64, v115, -v206
	v_fmac_f32_e32 v109, 0x3f0a6770, v108
	v_sub_f32_e32 v108, v110, v112
	v_dual_add_f32 v195, v195, v204 :: v_dual_add_f32 v204, v112, v110
	s_delay_alu instid0(VALU_DEP_4) | instskip(NEXT) | instid1(VALU_DEP_1)
	v_dual_mul_f32 v112, 0xbe11bafb, v111 :: v_dual_add_f32 v113, v113, v116
	v_fmamk_f32 v116, v108, 0x3f7d64f0, v112
	v_mul_f32_e32 v205, 0xbf7d64f0, v200
	v_fmac_f32_e32 v112, 0xbf7d64f0, v108
	s_delay_alu instid0(VALU_DEP_3) | instskip(NEXT) | instid1(VALU_DEP_3)
	v_add_f32_e32 v116, v116, v189
	v_fmamk_f32 v110, v204, 0xbe11bafb, v205
	s_delay_alu instid0(VALU_DEP_3) | instskip(NEXT) | instid1(VALU_DEP_2)
	v_dual_add_f32 v112, v112, v114 :: v_dual_add_f32 v109, v109, v117
	v_dual_mul_f32 v117, 0x3e903f40, v200 :: v_dual_add_f32 v110, v110, v197
	v_mul_f32_e32 v197, 0xbf75a155, v111
	s_delay_alu instid0(VALU_DEP_2) | instskip(NEXT) | instid1(VALU_DEP_1)
	v_fmamk_f32 v189, v204, 0xbf75a155, v117
	v_dual_fmamk_f32 v114, v108, 0xbe903f40, v197 :: v_dual_add_f32 v187, v189, v187
	s_delay_alu instid0(VALU_DEP_1) | instskip(SKIP_3) | instid1(VALU_DEP_2)
	v_dual_add_f32 v114, v114, v198 :: v_dual_add_f32 v115, v203, v192
	v_mul_f32_e32 v198, 0x3ed4b147, v111
	v_fma_f32 v192, 0xbe11bafb, v204, -v205
	v_mul_f32_e32 v203, 0x3f575c64, v111
	v_dual_mul_f32 v111, 0xbf27a4f4, v111 :: v_dual_add_f32 v190, v192, v190
	v_mul_f32_e32 v192, 0x3f68dda4, v200
	s_delay_alu instid0(VALU_DEP_1) | instskip(SKIP_1) | instid1(VALU_DEP_2)
	v_fmamk_f32 v189, v204, 0x3ed4b147, v192
	v_fma_f32 v192, 0x3ed4b147, v204, -v192
	v_add_f32_e32 v189, v189, v193
	v_fmamk_f32 v193, v108, 0xbf68dda4, v198
	s_delay_alu instid0(VALU_DEP_3) | instskip(SKIP_2) | instid1(VALU_DEP_4)
	v_add_f32_e32 v188, v192, v188
	v_fmac_f32_e32 v197, 0x3e903f40, v108
	v_fmac_f32_e32 v198, 0x3f68dda4, v108
	v_add_f32_e32 v166, v193, v166
	v_fma_f32 v117, 0xbf75a155, v204, -v117
	s_delay_alu instid0(VALU_DEP_3) | instskip(NEXT) | instid1(VALU_DEP_2)
	v_dual_add_f32 v165, v197, v165 :: v_dual_add_f32 v192, v198, v196
	v_dual_mul_f32 v196, 0xbf4178ce, v200 :: v_dual_add_f32 v117, v117, v191
	v_mul_f32_e32 v191, 0xbf0a6770, v200
	s_delay_alu instid0(VALU_DEP_1) | instskip(NEXT) | instid1(VALU_DEP_1)
	v_fmamk_f32 v197, v204, 0x3f575c64, v191
	v_add_f32_e32 v193, v197, v194
	v_fmamk_f32 v197, v108, 0x3f4178ce, v111
	s_delay_alu instid0(VALU_DEP_1) | instskip(SKIP_2) | instid1(VALU_DEP_3)
	v_dual_fmamk_f32 v194, v108, 0x3f0a6770, v203 :: v_dual_add_f32 v115, v197, v115
	v_dual_add_f32 v197, v106, v100 :: v_dual_sub_f32 v100, v100, v106
	v_fma_f32 v191, 0x3f575c64, v204, -v191
	v_dual_add_f32 v194, v194, v195 :: v_dual_fmamk_f32 v195, v204, 0xbf27a4f4, v196
	v_fma_f32 v196, 0xbf27a4f4, v204, -v196
	v_fmac_f32_e32 v111, 0xbf4178ce, v108
	s_delay_alu instid0(VALU_DEP_4) | instskip(SKIP_4) | instid1(VALU_DEP_3)
	v_add_f32_e32 v191, v191, v199
	v_sub_f32_e32 v199, v101, v107
	v_add_f32_e32 v101, v107, v101
	v_add_f32_e32 v113, v196, v113
	;; [unrolled: 1-line block ×3, first 2 shown]
	v_mul_f32_e32 v106, 0xbf27a4f4, v101
	s_delay_alu instid0(VALU_DEP_1) | instskip(SKIP_2) | instid1(VALU_DEP_3)
	v_fmamk_f32 v196, v100, 0x3f4178ce, v106
	v_fmac_f32_e32 v106, 0xbf4178ce, v100
	v_fmac_f32_e32 v203, 0xbf0a6770, v108
	v_add_f32_e32 v116, v196, v116
	s_delay_alu instid0(VALU_DEP_3) | instskip(SKIP_3) | instid1(VALU_DEP_3)
	v_add_f32_e32 v106, v106, v112
	v_mul_f32_e32 v112, 0xbf0a6770, v199
	v_mul_f32_e32 v196, 0xbe11bafb, v101
	v_dual_add_f32 v198, v203, v201 :: v_dual_mul_f32 v111, 0x3f7d64f0, v199
	v_fmamk_f32 v200, v197, 0x3f575c64, v112
	v_fma_f32 v112, 0x3f575c64, v197, -v112
	s_delay_alu instid0(VALU_DEP_1) | instskip(NEXT) | instid1(VALU_DEP_1)
	v_dual_mul_f32 v107, 0xbf4178ce, v199 :: v_dual_add_f32 v112, v112, v188
	v_fmamk_f32 v108, v197, 0xbf27a4f4, v107
	v_fma_f32 v107, 0xbf27a4f4, v197, -v107
	s_delay_alu instid0(VALU_DEP_2) | instskip(NEXT) | instid1(VALU_DEP_2)
	v_add_f32_e32 v108, v108, v110
	v_dual_fmamk_f32 v110, v197, 0xbe11bafb, v111 :: v_dual_add_f32 v107, v107, v190
	v_mul_f32_e32 v190, 0x3f575c64, v101
	v_fma_f32 v111, 0xbe11bafb, v197, -v111
	s_delay_alu instid0(VALU_DEP_3) | instskip(SKIP_1) | instid1(VALU_DEP_2)
	v_dual_add_f32 v110, v110, v187 :: v_dual_fmamk_f32 v187, v100, 0xbf7d64f0, v196
	v_fmac_f32_e32 v196, 0x3f7d64f0, v100
	v_add_f32_e32 v114, v187, v114
	v_add_f32_e32 v195, v195, v202
	;; [unrolled: 1-line block ×3, first 2 shown]
	v_mul_f32_e32 v189, 0xbe903f40, v199
	v_add_f32_e32 v111, v111, v117
	v_add_f32_e32 v117, v196, v165
	v_fmamk_f32 v165, v100, 0x3f0a6770, v190
	v_fmac_f32_e32 v190, 0xbf0a6770, v100
	v_fmamk_f32 v196, v197, 0xbf75a155, v189
	v_fma_f32 v189, 0xbf75a155, v197, -v189
	s_delay_alu instid0(VALU_DEP_3) | instskip(NEXT) | instid1(VALU_DEP_3)
	v_add_f32_e32 v188, v190, v192
	v_dual_mul_f32 v190, 0x3f68dda4, v199 :: v_dual_add_f32 v193, v196, v193
	s_delay_alu instid0(VALU_DEP_3) | instskip(NEXT) | instid1(VALU_DEP_2)
	v_add_f32_e32 v189, v189, v191
	v_fmamk_f32 v196, v197, 0x3ed4b147, v190
	v_fma_f32 v190, 0x3ed4b147, v197, -v190
	v_add_f32_e32 v197, v104, v102
	s_delay_alu instid0(VALU_DEP_3) | instskip(SKIP_3) | instid1(VALU_DEP_1)
	v_add_f32_e32 v191, v196, v195
	v_add_f32_e32 v196, v105, v103
	v_dual_add_f32 v165, v165, v166 :: v_dual_mul_f32 v166, 0xbf75a155, v101
	v_mul_f32_e32 v101, 0x3ed4b147, v101
	v_dual_add_f32 v190, v190, v113 :: v_dual_fmamk_f32 v195, v100, 0xbf68dda4, v101
	s_delay_alu instid0(VALU_DEP_3) | instskip(SKIP_2) | instid1(VALU_DEP_3)
	v_fmamk_f32 v192, v100, 0x3e903f40, v166
	v_fmac_f32_e32 v166, 0xbe903f40, v100
	v_fmac_f32_e32 v101, 0x3f68dda4, v100
	v_dual_add_f32 v195, v195, v115 :: v_dual_add_f32 v192, v192, v194
	v_sub_f32_e32 v194, v103, v105
	s_delay_alu instid0(VALU_DEP_4) | instskip(SKIP_2) | instid1(VALU_DEP_4)
	v_add_f32_e32 v166, v166, v198
	v_sub_f32_e32 v198, v102, v104
	v_dual_mul_f32 v104, 0xbf75a155, v196 :: v_dual_add_f32 v199, v101, v109
	v_mul_f32_e32 v103, 0xbe903f40, v194
	v_mul_f32_e32 v105, 0x3f0a6770, v194
	;; [unrolled: 1-line block ×3, first 2 shown]
	s_delay_alu instid0(VALU_DEP_4) | instskip(SKIP_2) | instid1(VALU_DEP_1)
	v_fmamk_f32 v101, v198, 0x3e903f40, v104
	v_fmac_f32_e32 v104, 0xbe903f40, v198
	v_fma_f32 v102, 0xbf75a155, v197, -v103
	v_dual_mul_f32 v109, 0x3f575c64, v196 :: v_dual_add_f32 v102, v102, v107
	s_delay_alu instid0(VALU_DEP_3) | instskip(NEXT) | instid1(VALU_DEP_2)
	v_dual_fmamk_f32 v100, v197, 0xbf75a155, v103 :: v_dual_add_f32 v103, v104, v106
	v_fmamk_f32 v106, v198, 0xbf0a6770, v109
	v_mul_f32_e32 v115, 0xbf27a4f4, v196
	s_delay_alu instid0(VALU_DEP_3) | instskip(SKIP_1) | instid1(VALU_DEP_1)
	v_add_f32_e32 v100, v100, v108
	v_fmamk_f32 v108, v197, 0x3f575c64, v105
	v_add_f32_e32 v104, v108, v110
	v_fmamk_f32 v108, v197, 0xbf27a4f4, v113
	v_fma_f32 v110, 0xbf27a4f4, v197, -v113
	s_delay_alu instid0(VALU_DEP_2) | instskip(NEXT) | instid1(VALU_DEP_2)
	v_dual_add_f32 v108, v108, v187 :: v_dual_add_f32 v101, v101, v116
	v_add_f32_e32 v110, v110, v112
	v_fma_f32 v107, 0x3f575c64, v197, -v105
	v_dual_add_f32 v105, v106, v114 :: v_dual_mul_f32 v116, 0x3ed4b147, v196
	v_mul_f32_e32 v114, 0x3f68dda4, v194
	s_delay_alu instid0(VALU_DEP_3) | instskip(NEXT) | instid1(VALU_DEP_2)
	v_dual_mul_f32 v187, 0xbe11bafb, v196 :: v_dual_add_f32 v106, v107, v111
	v_fmamk_f32 v113, v197, 0x3ed4b147, v114
	s_delay_alu instid0(VALU_DEP_1) | instskip(NEXT) | instid1(VALU_DEP_1)
	v_dual_fmac_f32 v109, 0x3f0a6770, v198 :: v_dual_add_f32 v112, v113, v193
	v_add_f32_e32 v107, v109, v117
	v_fmamk_f32 v109, v198, 0x3f4178ce, v115
	v_fmac_f32_e32 v115, 0xbf4178ce, v198
	v_mul_f32_e32 v117, 0xbf7d64f0, v194
	s_delay_alu instid0(VALU_DEP_2) | instskip(SKIP_3) | instid1(VALU_DEP_3)
	v_dual_add_f32 v111, v115, v188 :: v_dual_fmamk_f32 v188, v198, 0x3f7d64f0, v187
	v_fmamk_f32 v115, v198, 0xbf68dda4, v116
	v_fmac_f32_e32 v116, 0x3f68dda4, v198
	v_fmac_f32_e32 v187, 0xbf7d64f0, v198
	v_add_f32_e32 v113, v115, v192
	s_delay_alu instid0(VALU_DEP_2) | instskip(SKIP_2) | instid1(VALU_DEP_1)
	v_dual_add_f32 v115, v116, v166 :: v_dual_add_f32 v166, v187, v199
	v_add_f32_e32 v109, v109, v165
	v_fma_f32 v114, 0x3ed4b147, v197, -v114
	v_dual_fmamk_f32 v165, v197, 0xbe11bafb, v117 :: v_dual_add_f32 v114, v114, v189
	v_fma_f32 v189, 0xbe11bafb, v197, -v117
	s_delay_alu instid0(VALU_DEP_2) | instskip(SKIP_1) | instid1(VALU_DEP_3)
	v_add_f32_e32 v116, v165, v191
	v_add_f32_e32 v117, v188, v195
	;; [unrolled: 1-line block ×3, first 2 shown]
	ds_store_2addr_b64 v170, v[118:119], v[100:101] offset1:1
	ds_store_2addr_b64 v170, v[104:105], v[108:109] offset0:2 offset1:3
	ds_store_2addr_b64 v170, v[112:113], v[116:117] offset0:4 offset1:5
	;; [unrolled: 1-line block ×4, first 2 shown]
	ds_store_b64 v170, v[102:103] offset:80
	s_and_saveexec_b32 s0, vcc_lo
	s_cbranch_execz .LBB0_13
; %bb.12:
	v_dual_add_f32 v104, v146, v91 :: v_dual_sub_f32 v109, v96, v2
	v_dual_sub_f32 v108, v90, v145 :: v_dual_add_f32 v107, v1, v99
	v_dual_add_f32 v106, v3, v97 :: v_dual_sub_f32 v111, v98, v0
	s_delay_alu instid0(VALU_DEP_3) | instskip(NEXT) | instid1(VALU_DEP_3)
	v_dual_mul_f32 v110, 0xbf75a155, v104 :: v_dual_sub_f32 v113, v92, v6
	v_dual_sub_f32 v116, v91, v146 :: v_dual_mul_f32 v117, 0xbf27a4f4, v107
	s_delay_alu instid0(VALU_DEP_3) | instskip(NEXT) | instid1(VALU_DEP_3)
	v_dual_mul_f32 v114, 0x3f575c64, v106 :: v_dual_sub_f32 v187, v99, v1
	v_dual_fmamk_f32 v100, v108, 0x3e903f40, v110 :: v_dual_sub_f32 v193, v94, v4
	v_dual_add_f32 v112, v7, v93 :: v_dual_add_f32 v115, v145, v90
	s_delay_alu instid0(VALU_DEP_3) | instskip(SKIP_1) | instid1(VALU_DEP_4)
	v_dual_fmamk_f32 v101, v109, 0xbf0a6770, v114 :: v_dual_add_f32 v166, v2, v96
	v_dual_mul_f32 v165, 0xbe903f40, v116 :: v_dual_add_f32 v188, v5, v95
	v_add_f32_e32 v100, v89, v100
	s_delay_alu instid0(VALU_DEP_4) | instskip(SKIP_1) | instid1(VALU_DEP_4)
	v_dual_sub_f32 v118, v97, v3 :: v_dual_mul_f32 v119, 0x3ed4b147, v112
	v_add_f32_e32 v189, v0, v98
	v_dual_mul_f32 v191, 0xbe11bafb, v188 :: v_dual_sub_f32 v192, v93, v7
	s_delay_alu instid0(VALU_DEP_4) | instskip(SKIP_2) | instid1(VALU_DEP_3)
	v_dual_add_f32 v100, v101, v100 :: v_dual_fmamk_f32 v101, v115, 0xbf75a155, v165
	v_fmamk_f32 v102, v111, 0x3f4178ce, v117
	v_dual_mul_f32 v190, 0xbf4178ce, v187 :: v_dual_sub_f32 v197, v95, v5
	v_dual_add_f32 v194, v6, v92 :: v_dual_add_f32 v101, v88, v101
	v_mul_f32_e32 v170, 0x3f0a6770, v118
	s_delay_alu instid0(VALU_DEP_4) | instskip(NEXT) | instid1(VALU_DEP_4)
	v_dual_fmamk_f32 v103, v113, 0xbf68dda4, v119 :: v_dual_add_f32 v100, v102, v100
	v_dual_add_f32 v199, v4, v94 :: v_dual_mul_f32 v200, 0xbf7d64f0, v197
	v_mul_f32_e32 v198, 0xbe11bafb, v106
	v_mul_f32_e32 v202, 0x3f575c64, v107
	s_delay_alu instid0(VALU_DEP_4) | instskip(SKIP_3) | instid1(VALU_DEP_3)
	v_dual_add_f32 v100, v103, v100 :: v_dual_fmamk_f32 v103, v193, 0x3f7d64f0, v191
	v_fmamk_f32 v102, v166, 0x3f575c64, v170
	v_dual_add_f32 v90, v90, v88 :: v_dual_fmac_f32 v117, 0xbf4178ce, v111
	v_mul_f32_e32 v201, 0xbf4178ce, v116
	v_dual_mul_f32 v196, 0xbf27a4f4, v104 :: v_dual_add_f32 v101, v102, v101
	v_fmamk_f32 v102, v189, 0xbf27a4f4, v190
	v_mul_f32_e32 v195, 0x3f68dda4, v192
	s_delay_alu instid0(VALU_DEP_4)
	v_fmamk_f32 v203, v115, 0xbf27a4f4, v201
	v_mul_f32_e32 v204, 0x3f7d64f0, v118
	v_add_f32_e32 v90, v96, v90
	v_add_f32_e32 v102, v102, v101
	v_fmamk_f32 v105, v194, 0x3ed4b147, v195
	v_add_f32_e32 v101, v103, v100
	v_dual_add_f32 v203, v88, v203 :: v_dual_fmamk_f32 v206, v166, 0xbe11bafb, v204
	v_dual_add_f32 v90, v98, v90 :: v_dual_fmac_f32 v119, 0x3f68dda4, v113
	s_delay_alu instid0(VALU_DEP_4) | instskip(NEXT) | instid1(VALU_DEP_3)
	v_add_f32_e32 v100, v105, v102
	v_dual_fmamk_f32 v102, v108, 0x3f4178ce, v196 :: v_dual_add_f32 v203, v206, v203
	v_fmamk_f32 v105, v199, 0xbe11bafb, v200
	v_fmamk_f32 v103, v109, 0xbf7d64f0, v198
	s_delay_alu instid0(VALU_DEP_3) | instskip(SKIP_1) | instid1(VALU_DEP_4)
	v_dual_mul_f32 v205, 0xbf75a155, v112 :: v_dual_add_f32 v102, v89, v102
	v_dual_add_f32 v90, v92, v90 :: v_dual_fmac_f32 v191, 0xbf7d64f0, v193
	v_add_f32_e32 v100, v105, v100
	v_mul_f32_e32 v216, 0x3e903f40, v118
	s_delay_alu instid0(VALU_DEP_4)
	v_add_f32_e32 v102, v103, v102
	v_fmamk_f32 v103, v111, 0x3f0a6770, v202
	v_mul_f32_e32 v207, 0xbf0a6770, v187
	v_mul_f32_e32 v217, 0x3f575c64, v112
	;; [unrolled: 1-line block ×3, first 2 shown]
	v_fmac_f32_e32 v110, 0xbe903f40, v108
	v_dual_add_f32 v102, v103, v102 :: v_dual_fmamk_f32 v103, v113, 0x3e903f40, v205
	v_fmamk_f32 v206, v189, 0x3f575c64, v207
	v_mul_f32_e32 v209, 0xbe903f40, v192
	v_mul_f32_e32 v208, 0x3ed4b147, v188
	v_fmac_f32_e32 v114, 0x3f0a6770, v109
	s_delay_alu instid0(VALU_DEP_4) | instskip(NEXT) | instid1(VALU_DEP_4)
	v_dual_add_f32 v102, v103, v102 :: v_dual_add_f32 v203, v206, v203
	v_fmamk_f32 v206, v194, 0xbf75a155, v209
	v_mul_f32_e32 v210, 0xbe11bafb, v104
	v_mul_f32_e32 v235, 0x3ed4b147, v106
	v_dual_add_f32 v90, v94, v90 :: v_dual_mul_f32 v233, 0x3f575c64, v188
	s_delay_alu instid0(VALU_DEP_4) | instskip(SKIP_2) | instid1(VALU_DEP_4)
	v_add_f32_e32 v105, v206, v203
	v_mul_f32_e32 v203, 0x3f68dda4, v197
	v_mul_f32_e32 v206, 0xbf7d64f0, v116
	v_dual_add_f32 v4, v4, v90 :: v_dual_mul_f32 v225, 0xbf4178ce, v197
	v_mul_f32_e32 v224, 0xbf27a4f4, v106
	s_delay_alu instid0(VALU_DEP_4) | instskip(NEXT) | instid1(VALU_DEP_3)
	v_fmamk_f32 v214, v199, 0x3ed4b147, v203
	v_dual_fmamk_f32 v215, v115, 0xbe11bafb, v206 :: v_dual_add_f32 v4, v6, v4
	v_add_f32_e32 v6, v89, v110
	v_mul_f32_e32 v227, 0xbf4178ce, v118
	s_delay_alu instid0(VALU_DEP_3) | instskip(NEXT) | instid1(VALU_DEP_4)
	v_dual_mul_f32 v220, 0xbf27a4f4, v188 :: v_dual_add_f32 v215, v88, v215
	v_add_f32_e32 v4, v0, v4
	s_delay_alu instid0(VALU_DEP_4) | instskip(NEXT) | instid1(VALU_DEP_4)
	v_add_f32_e32 v6, v114, v6
	v_fmamk_f32 v229, v166, 0xbf27a4f4, v227
	s_delay_alu instid0(VALU_DEP_4)
	v_fmamk_f32 v223, v193, 0x3f4178ce, v220
	v_fmamk_f32 v218, v166, 0xbf75a155, v216
	v_add_f32_e32 v2, v2, v4
	v_dual_add_f32 v4, v117, v6 :: v_dual_mul_f32 v221, 0xbf0a6770, v192
	v_fmamk_f32 v231, v199, 0xbf27a4f4, v225
	v_mul_f32_e32 v92, 0xbf75a155, v188
	v_fmac_f32_e32 v196, 0xbf4178ce, v108
	s_delay_alu instid0(VALU_DEP_4)
	v_add_f32_e32 v4, v119, v4
	v_fmamk_f32 v106, v193, 0xbf0a6770, v233
	v_fmamk_f32 v212, v109, 0xbe903f40, v211
	;; [unrolled: 1-line block ×3, first 2 shown]
	v_dual_add_f32 v215, v218, v215 :: v_dual_fmac_f32 v198, 0x3f7d64f0, v109
	v_mul_f32_e32 v213, 0x3ed4b147, v107
	s_delay_alu instid0(VALU_DEP_3)
	v_dual_fmac_f32 v208, 0x3f68dda4, v193 :: v_dual_add_f32 v103, v103, v102
	v_fmamk_f32 v102, v108, 0x3f7d64f0, v210
	v_fmac_f32_e32 v202, 0xbf0a6770, v111
	v_fmac_f32_e32 v210, 0xbf7d64f0, v108
	;; [unrolled: 1-line block ×3, first 2 shown]
	v_add_f32_e32 v2, v145, v2
	v_dual_add_f32 v102, v89, v102 :: v_dual_add_f32 v91, v91, v89
	v_mul_f32_e32 v222, 0x3ed4b147, v104
	v_fmamk_f32 v237, v109, 0x3f68dda4, v235
	s_delay_alu instid0(VALU_DEP_3) | instskip(NEXT) | instid1(VALU_DEP_4)
	v_dual_fmac_f32 v235, 0xbf68dda4, v109 :: v_dual_add_f32 v102, v212, v102
	v_dual_add_f32 v91, v97, v91 :: v_dual_fmamk_f32 v212, v111, 0xbf68dda4, v213
	v_mul_f32_e32 v97, 0xbf68dda4, v118
	v_fmamk_f32 v94, v193, 0x3e903f40, v92
	v_fmac_f32_e32 v213, 0x3f68dda4, v111
	s_delay_alu instid0(VALU_DEP_4) | instskip(SKIP_3) | instid1(VALU_DEP_4)
	v_dual_add_f32 v91, v99, v91 :: v_dual_add_f32 v102, v212, v102
	v_fmamk_f32 v212, v113, 0x3f0a6770, v217
	v_mul_f32_e32 v219, 0x3f68dda4, v187
	v_fmac_f32_e32 v217, 0xbf0a6770, v113
	v_dual_add_f32 v91, v93, v91 :: v_dual_mul_f32 v228, 0xbe11bafb, v112
	s_delay_alu instid0(VALU_DEP_4) | instskip(NEXT) | instid1(VALU_DEP_4)
	v_add_f32_e32 v212, v212, v102
	v_fmamk_f32 v218, v189, 0x3ed4b147, v219
	s_delay_alu instid0(VALU_DEP_3) | instskip(SKIP_1) | instid1(VALU_DEP_4)
	v_dual_add_f32 v102, v214, v105 :: v_dual_add_f32 v91, v95, v91
	v_mul_f32_e32 v232, 0x3f7d64f0, v192
	v_add_f32_e32 v105, v223, v212
	s_delay_alu instid0(VALU_DEP_4)
	v_add_f32_e32 v215, v218, v215
	v_fmamk_f32 v218, v194, 0x3f575c64, v221
	v_fmamk_f32 v214, v108, 0x3f68dda4, v222
	v_mul_f32_e32 v223, 0xbf75a155, v107
	v_fmamk_f32 v98, v166, 0x3ed4b147, v97
	v_fmac_f32_e32 v222, 0xbf68dda4, v108
	v_dual_add_f32 v212, v218, v215 :: v_dual_mul_f32 v215, 0xbf68dda4, v116
	v_dual_mul_f32 v116, 0xbf0a6770, v116 :: v_dual_add_f32 v5, v5, v91
	v_mul_f32_e32 v230, 0x3e903f40, v187
	v_add_f32_e32 v214, v89, v214
	s_delay_alu instid0(VALU_DEP_4) | instskip(NEXT) | instid1(VALU_DEP_4)
	v_fmamk_f32 v226, v115, 0x3ed4b147, v215
	v_fmamk_f32 v96, v115, 0x3f575c64, v116
	v_add_f32_e32 v5, v7, v5
	v_fma_f32 v91, 0xbe11bafb, v166, -v204
	v_fma_f32 v97, 0x3ed4b147, v166, -v97
	v_add_f32_e32 v226, v88, v226
	v_add_f32_e32 v96, v88, v96
	v_fmamk_f32 v218, v109, 0x3f4178ce, v224
	v_mul_f32_e32 v99, 0xbf7d64f0, v187
	v_fmac_f32_e32 v224, 0xbf4178ce, v109
	s_delay_alu instid0(VALU_DEP_4) | instskip(NEXT) | instid1(VALU_DEP_4)
	v_dual_add_f32 v226, v229, v226 :: v_dual_add_f32 v93, v98, v96
	v_add_f32_e32 v214, v218, v214
	s_delay_alu instid0(VALU_DEP_4) | instskip(SKIP_3) | instid1(VALU_DEP_3)
	v_fmamk_f32 v96, v189, 0xbe11bafb, v99
	v_fmamk_f32 v218, v111, 0xbe903f40, v223
	;; [unrolled: 1-line block ×3, first 2 shown]
	v_dual_mul_f32 v95, 0xbf4178ce, v192 :: v_dual_add_f32 v98, v89, v222
	v_dual_add_f32 v93, v96, v93 :: v_dual_add_f32 v214, v218, v214
	v_mul_f32_e32 v96, 0xbe903f40, v197
	s_delay_alu instid0(VALU_DEP_3)
	v_fmamk_f32 v90, v194, 0xbf27a4f4, v95
	v_fmamk_f32 v218, v113, 0xbf7d64f0, v228
	v_add_f32_e32 v98, v224, v98
	v_fma_f32 v110, 0xbf27a4f4, v199, -v225
	v_fmac_f32_e32 v228, 0x3f7d64f0, v113
	v_add_f32_e32 v7, v90, v93
	v_dual_add_f32 v214, v218, v214 :: v_dual_add_f32 v5, v1, v5
	v_mul_f32_e32 v218, 0x3f575c64, v104
	v_add_f32_e32 v104, v229, v226
	v_fmamk_f32 v226, v194, 0xbe11bafb, v232
	v_fmamk_f32 v90, v199, 0xbf75a155, v96
	v_add_f32_e32 v3, v3, v5
	v_fma_f32 v5, 0xbf75a155, v115, -v165
	v_dual_fmamk_f32 v234, v108, 0x3f0a6770, v218 :: v_dual_mul_f32 v229, 0x3f0a6770, v197
	s_delay_alu instid0(VALU_DEP_4) | instskip(NEXT) | instid1(VALU_DEP_3)
	v_add_f32_e32 v0, v90, v7
	v_dual_add_f32 v3, v146, v3 :: v_dual_add_f32 v6, v88, v5
	v_fma_f32 v7, 0x3f575c64, v166, -v170
	v_add_f32_e32 v90, v89, v196
	v_add_f32_e32 v5, v191, v4
	v_fma_f32 v4, 0xbf27a4f4, v115, -v201
	v_dual_add_f32 v234, v89, v234 :: v_dual_fmac_f32 v205, 0xbe903f40, v113
	v_add_f32_e32 v6, v7, v6
	v_fma_f32 v7, 0xbf27a4f4, v189, -v190
	v_add_f32_e32 v90, v198, v90
	v_add_f32_e32 v4, v88, v4
	;; [unrolled: 1-line block ×3, first 2 shown]
	v_fma_f32 v93, 0xbf75a155, v194, -v209
	v_add_f32_e32 v6, v7, v6
	v_fma_f32 v7, 0x3ed4b147, v194, -v195
	v_add_f32_e32 v90, v202, v90
	v_add_f32_e32 v4, v91, v4
	v_fma_f32 v91, 0x3f575c64, v189, -v207
	v_mul_f32_e32 v238, 0xbe11bafb, v107
	v_add_f32_e32 v6, v7, v6
	v_fma_f32 v7, 0xbe11bafb, v199, -v200
	s_delay_alu instid0(VALU_DEP_4) | instskip(SKIP_2) | instid1(VALU_DEP_4)
	v_dual_add_f32 v90, v205, v90 :: v_dual_add_f32 v91, v91, v4
	v_fmamk_f32 v236, v199, 0x3f575c64, v229
	v_dual_add_f32 v104, v231, v212 :: v_dual_add_f32 v107, v106, v214
	v_add_f32_e32 v4, v7, v6
	s_delay_alu instid0(VALU_DEP_4) | instskip(NEXT) | instid1(VALU_DEP_4)
	v_add_f32_e32 v7, v208, v90
	v_dual_add_f32 v106, v236, v226 :: v_dual_fmac_f32 v211, 0x3e903f40, v109
	v_add_f32_e32 v90, v93, v91
	v_add_f32_e32 v91, v89, v210
	;; [unrolled: 1-line block ×3, first 2 shown]
	v_fma_f32 v6, 0xbe11bafb, v115, -v206
	v_fma_f32 v93, 0xbf75a155, v166, -v216
	v_fmac_f32_e32 v223, 0x3e903f40, v111
	v_add_f32_e32 v91, v211, v91
	v_fmamk_f32 v214, v111, 0x3f7d64f0, v238
	v_dual_add_f32 v6, v88, v6 :: v_dual_fmac_f32 v233, 0x3f0a6770, v193
	s_delay_alu instid0(VALU_DEP_3) | instskip(SKIP_1) | instid1(VALU_DEP_4)
	v_dual_add_f32 v98, v223, v98 :: v_dual_add_f32 v91, v213, v91
	v_mul_f32_e32 v112, 0xbf27a4f4, v112
	v_add_f32_e32 v212, v214, v212
	s_delay_alu instid0(VALU_DEP_4)
	v_add_f32_e32 v6, v93, v6
	v_fma_f32 v93, 0x3ed4b147, v189, -v219
	v_add_f32_e32 v91, v217, v91
	v_fmamk_f32 v214, v113, 0x3f4178ce, v112
	v_fmac_f32_e32 v238, 0xbf7d64f0, v111
	v_fmac_f32_e32 v112, 0xbf4178ce, v113
	s_delay_alu instid0(VALU_DEP_4) | instskip(NEXT) | instid1(VALU_DEP_4)
	v_dual_add_f32 v6, v93, v6 :: v_dual_add_f32 v91, v220, v91
	v_add_f32_e32 v118, v214, v212
	v_fma_f32 v93, 0x3f575c64, v194, -v221
	v_fma_f32 v95, 0xbf27a4f4, v194, -v95
	s_delay_alu instid0(VALU_DEP_3) | instskip(SKIP_1) | instid1(VALU_DEP_4)
	v_add_f32_e32 v1, v94, v118
	v_fma_f32 v94, 0x3ed4b147, v199, -v203
	v_dual_add_f32 v93, v93, v6 :: v_dual_fmac_f32 v218, 0xbf0a6770, v108
	v_fma_f32 v108, 0xbf27a4f4, v166, -v227
	s_delay_alu instid0(VALU_DEP_3) | instskip(NEXT) | instid1(VALU_DEP_3)
	v_add_f32_e32 v6, v94, v90
	v_add_f32_e32 v90, v110, v93
	v_fma_f32 v93, 0x3ed4b147, v115, -v215
	v_add_f32_e32 v94, v228, v98
	v_fma_f32 v98, 0x3f575c64, v115, -v116
	v_dual_add_f32 v89, v89, v218 :: v_dual_fmac_f32 v92, 0xbe903f40, v193
	s_delay_alu instid0(VALU_DEP_4) | instskip(NEXT) | instid1(VALU_DEP_3)
	v_add_f32_e32 v93, v88, v93
	v_add_f32_e32 v88, v88, v98
	v_fma_f32 v98, 0xbf75a155, v189, -v230
	s_delay_alu instid0(VALU_DEP_4) | instskip(NEXT) | instid1(VALU_DEP_3)
	v_add_f32_e32 v89, v235, v89
	v_dual_add_f32 v93, v108, v93 :: v_dual_add_f32 v88, v97, v88
	v_fma_f32 v97, 0xbe11bafb, v189, -v99
	s_delay_alu instid0(VALU_DEP_3) | instskip(NEXT) | instid1(VALU_DEP_3)
	v_add_f32_e32 v89, v238, v89
	v_add_f32_e32 v93, v98, v93
	v_fma_f32 v98, 0xbe11bafb, v194, -v232
	s_delay_alu instid0(VALU_DEP_4) | instskip(SKIP_1) | instid1(VALU_DEP_3)
	v_dual_add_f32 v88, v97, v88 :: v_dual_lshlrev_b32 v99, 3, v169
	v_fma_f32 v97, 0x3f575c64, v199, -v229
	v_add_f32_e32 v93, v98, v93
	s_delay_alu instid0(VALU_DEP_3) | instskip(SKIP_2) | instid1(VALU_DEP_3)
	v_dual_add_f32 v98, v112, v89 :: v_dual_add_f32 v95, v95, v88
	v_add_f32_e32 v89, v233, v94
	v_fma_f32 v96, 0xbf75a155, v199, -v96
	v_dual_add_f32 v88, v97, v93 :: v_dual_add_f32 v93, v92, v98
	s_delay_alu instid0(VALU_DEP_2)
	v_add_f32_e32 v92, v96, v95
	ds_store_2addr_b64 v99, v[2:3], v[0:1] offset1:1
	ds_store_2addr_b64 v99, v[106:107], v[104:105] offset0:2 offset1:3
	ds_store_2addr_b64 v99, v[102:103], v[100:101] offset0:4 offset1:5
	;; [unrolled: 1-line block ×4, first 2 shown]
	ds_store_b64 v99, v[92:93] offset:80
.LBB0_13:
	s_wait_alu 0xfffe
	s_or_b32 exec_lo, exec_lo, s0
	v_add_nc_u32_e32 v3, 0x1000, v167
	v_add_nc_u32_e32 v5, 0x2400, v167
	global_wb scope:SCOPE_SE
	s_wait_dscnt 0x0
	s_barrier_signal -1
	s_barrier_wait -1
	global_inv scope:SCOPE_SE
	ds_load_2addr_b64 v[88:91], v3 offset0:82 offset1:181
	ds_load_2addr_b64 v[92:95], v5 offset0:36 offset1:135
	ds_load_2addr_b64 v[96:99], v167 offset1:99
	v_add_nc_u32_e32 v4, 0x1800, v167
	v_add_nc_u32_e32 v0, 0x2800, v167
	;; [unrolled: 1-line block ×5, first 2 shown]
	s_mov_b32 s2, 0x7210aa18
	s_mov_b32 s3, 0x3f426369
	s_wait_dscnt 0x2
	v_mul_f32_e32 v145, v29, v89
	s_wait_dscnt 0x1
	v_dual_mul_f32 v29, v29, v88 :: v_dual_mul_f32 v146, v31, v93
	v_mul_f32_e32 v31, v31, v92
	v_mul_f32_e32 v165, v25, v91
	v_fmac_f32_e32 v145, v28, v88
	s_delay_alu instid0(VALU_DEP_4)
	v_fma_f32 v28, v28, v89, -v29
	v_fmac_f32_e32 v146, v30, v92
	v_fma_f32 v29, v30, v93, -v31
	v_mul_f32_e32 v30, v27, v95
	v_add_nc_u32_e32 v7, 0x400, v167
	v_mul_f32_e32 v25, v25, v90
	s_delay_alu instid0(VALU_DEP_3)
	v_fmac_f32_e32 v30, v26, v94
	ds_load_2addr_b64 v[100:103], v4 offset0:24 offset1:123
	ds_load_2addr_b64 v[104:107], v7 offset0:70 offset1:169
	;; [unrolled: 1-line block ×6, first 2 shown]
	global_wb scope:SCOPE_SE
	s_wait_dscnt 0x0
	s_barrier_signal -1
	s_barrier_wait -1
	global_inv scope:SCOPE_SE
	v_mul_f32_e32 v88, v19, v111
	v_mul_f32_e32 v19, v19, v110
	;; [unrolled: 1-line block ×3, first 2 shown]
	s_delay_alu instid0(VALU_DEP_3)
	v_fmac_f32_e32 v88, v18, v110
	v_dual_fmac_f32 v165, v24, v90 :: v_dual_mul_f32 v90, v13, v117
	v_mul_f32_e32 v27, v27, v94
	v_fma_f32 v24, v24, v91, -v25
	v_dual_mul_f32 v25, v21, v101 :: v_dual_fmac_f32 v92, v14, v187
	v_mul_f32_e32 v21, v21, v100
	v_fmac_f32_e32 v90, v12, v116
	v_fma_f32 v26, v26, v95, -v27
	v_dual_mul_f32 v27, v23, v109 :: v_dual_mul_f32 v94, v9, v119
	v_mul_f32_e32 v9, v9, v118
	v_fmac_f32_e32 v25, v20, v100
	v_mul_f32_e32 v23, v23, v108
	v_dual_mul_f32 v13, v13, v116 :: v_dual_mul_f32 v100, v11, v190
	v_fma_f32 v21, v20, v101, -v21
	v_fmac_f32_e32 v94, v8, v118
	v_fma_f32 v101, v8, v119, -v9
	v_add_f32_e32 v8, v145, v146
	v_dual_mul_f32 v31, v17, v103 :: v_dual_fmac_f32 v100, v10, v189
	v_fma_f32 v23, v22, v109, -v23
	v_fma_f32 v93, v12, v117, -v13
	s_delay_alu instid0(VALU_DEP_4) | instskip(SKIP_4) | instid1(VALU_DEP_4)
	v_fma_f32 v8, -0.5, v8, v96
	v_sub_f32_e32 v13, v28, v29
	v_mul_f32_e32 v17, v17, v102
	v_fmac_f32_e32 v31, v16, v102
	v_mul_f32_e32 v15, v15, v187
	v_dual_mul_f32 v11, v11, v189 :: v_dual_fmamk_f32 v12, v13, 0xbf5db3d7, v8
	v_fmac_f32_e32 v8, 0x3f5db3d7, v13
	v_fma_f32 v89, v16, v103, -v17
	v_sub_f32_e32 v17, v24, v26
	v_add_f32_e32 v9, v96, v145
	v_fmac_f32_e32 v27, v22, v108
	v_fma_f32 v95, v14, v188, -v15
	v_fma_f32 v102, v10, v190, -v11
	v_add_f32_e32 v14, v97, v28
	v_dual_add_f32 v10, v9, v146 :: v_dual_add_f32 v11, v28, v29
	v_add_f32_e32 v16, v98, v165
	v_fma_f32 v91, v18, v111, -v19
	v_add_f32_e32 v18, v99, v24
	v_add_f32_e32 v20, v104, v25
	v_fma_f32 v9, -0.5, v11, v97
	v_dual_add_f32 v11, v14, v29 :: v_dual_add_f32 v14, v165, v30
	s_delay_alu instid0(VALU_DEP_3) | instskip(SKIP_2) | instid1(VALU_DEP_4)
	v_dual_sub_f32 v19, v165, v30 :: v_dual_add_f32 v20, v20, v27
	v_add_f32_e32 v28, v107, v89
	v_sub_f32_e32 v29, v31, v88
	v_fma_f32 v98, -0.5, v14, v98
	v_sub_f32_e32 v15, v145, v146
	v_add_f32_e32 v14, v16, v30
	v_add_f32_e32 v30, v112, v90
	s_delay_alu instid0(VALU_DEP_4) | instskip(NEXT) | instid1(VALU_DEP_4)
	v_fmamk_f32 v16, v17, 0xbf5db3d7, v98
	v_dual_fmac_f32 v98, 0x3f5db3d7, v17 :: v_dual_fmamk_f32 v13, v15, 0x3f5db3d7, v9
	v_fmac_f32_e32 v9, 0xbf5db3d7, v15
	v_dual_add_f32 v15, v24, v26 :: v_dual_sub_f32 v24, v21, v23
	s_delay_alu instid0(VALU_DEP_1) | instskip(SKIP_4) | instid1(VALU_DEP_4)
	v_dual_add_f32 v30, v30, v92 :: v_dual_fmac_f32 v99, -0.5, v15
	v_dual_add_f32 v15, v18, v26 :: v_dual_add_f32 v18, v25, v27
	v_sub_f32_e32 v25, v25, v27
	v_add_f32_e32 v26, v106, v31
	v_sub_f32_e32 v27, v89, v91
	v_fma_f32 v18, -0.5, v18, v104
	s_delay_alu instid0(VALU_DEP_1) | instskip(SKIP_2) | instid1(VALU_DEP_1)
	v_fmamk_f32 v22, v24, 0xbf5db3d7, v18
	v_fmac_f32_e32 v18, 0x3f5db3d7, v24
	v_dual_add_f32 v24, v31, v88 :: v_dual_sub_f32 v31, v93, v95
	v_fma_f32 v106, -0.5, v24, v106
	v_dual_add_f32 v24, v26, v88 :: v_dual_fmamk_f32 v17, v19, 0x3f5db3d7, v99
	v_fmac_f32_e32 v99, 0xbf5db3d7, v19
	v_add_f32_e32 v19, v21, v23
	v_add_f32_e32 v21, v105, v21
	s_delay_alu instid0(VALU_DEP_2) | instskip(NEXT) | instid1(VALU_DEP_2)
	v_fma_f32 v19, -0.5, v19, v105
	v_add_f32_e32 v21, v21, v23
	s_delay_alu instid0(VALU_DEP_2) | instskip(SKIP_3) | instid1(VALU_DEP_2)
	v_fmamk_f32 v23, v25, 0x3f5db3d7, v19
	v_fmac_f32_e32 v19, 0xbf5db3d7, v25
	v_add_f32_e32 v25, v89, v91
	v_add_f32_e32 v89, v113, v93
	v_fmac_f32_e32 v107, -0.5, v25
	v_add_f32_e32 v25, v28, v91
	v_add_f32_e32 v91, v94, v100
	;; [unrolled: 1-line block ×3, first 2 shown]
	v_sub_f32_e32 v90, v90, v92
	v_add_f32_e32 v92, v114, v94
	v_fmamk_f32 v26, v27, 0xbf5db3d7, v106
	v_dual_fmac_f32 v106, 0x3f5db3d7, v27 :: v_dual_fmamk_f32 v27, v29, 0x3f5db3d7, v107
	v_fma_f32 v114, -0.5, v91, v114
	v_sub_f32_e32 v91, v101, v102
	v_fmac_f32_e32 v107, 0xbf5db3d7, v29
	v_add_f32_e32 v29, v93, v95
	v_fma_f32 v28, -0.5, v28, v112
	v_dual_add_f32 v93, v115, v101 :: v_dual_sub_f32 v94, v94, v100
	s_delay_alu instid0(VALU_DEP_3) | instskip(NEXT) | instid1(VALU_DEP_3)
	v_fma_f32 v29, -0.5, v29, v113
	v_fmamk_f32 v88, v31, 0xbf5db3d7, v28
	v_fmac_f32_e32 v28, 0x3f5db3d7, v31
	v_add_f32_e32 v31, v89, v95
	s_delay_alu instid0(VALU_DEP_4) | instskip(SKIP_2) | instid1(VALU_DEP_1)
	v_fmamk_f32 v89, v90, 0x3f5db3d7, v29
	v_fmac_f32_e32 v29, 0xbf5db3d7, v90
	v_add_f32_e32 v90, v101, v102
	v_dual_fmac_f32 v115, -0.5, v90 :: v_dual_add_f32 v90, v92, v100
	v_fmamk_f32 v92, v91, 0xbf5db3d7, v114
	v_dual_fmac_f32 v114, 0x3f5db3d7, v91 :: v_dual_add_f32 v91, v93, v102
	s_delay_alu instid0(VALU_DEP_3)
	v_fmamk_f32 v93, v94, 0x3f5db3d7, v115
	v_fmac_f32_e32 v115, 0xbf5db3d7, v94
	ds_store_2addr_b64 v176, v[10:11], v[12:13] offset1:11
	ds_store_b64 v176, v[8:9] offset:176
	ds_store_2addr_b64 v175, v[14:15], v[16:17] offset1:11
	ds_store_b64 v175, v[98:99] offset:176
	;; [unrolled: 2-line block ×6, first 2 shown]
	global_wb scope:SCOPE_SE
	s_wait_dscnt 0x0
	s_barrier_signal -1
	s_barrier_wait -1
	global_inv scope:SCOPE_SE
	ds_load_2addr_b64 v[8:11], v3 offset0:82 offset1:181
	ds_load_2addr_b64 v[12:15], v5 offset0:36 offset1:135
	ds_load_2addr_b64 v[16:19], v167 offset1:99
	ds_load_2addr_b64 v[20:23], v4 offset0:24 offset1:123
	ds_load_2addr_b64 v[24:27], v7 offset0:70 offset1:169
	;; [unrolled: 1-line block ×6, first 2 shown]
	global_wb scope:SCOPE_SE
	s_wait_dscnt 0x0
	s_barrier_signal -1
	s_barrier_wait -1
	global_inv scope:SCOPE_SE
	v_mul_f32_e32 v100, v53, v9
	v_mul_f32_e32 v53, v53, v8
	s_delay_alu instid0(VALU_DEP_2) | instskip(SKIP_1) | instid1(VALU_DEP_3)
	v_dual_mul_f32 v101, v55, v13 :: v_dual_fmac_f32 v100, v52, v8
	v_mul_f32_e32 v8, v55, v12
	v_fma_f32 v9, v52, v9, -v53
	s_delay_alu instid0(VALU_DEP_3) | instskip(SKIP_1) | instid1(VALU_DEP_4)
	v_dual_mul_f32 v52, v49, v11 :: v_dual_fmac_f32 v101, v54, v12
	v_mul_f32_e32 v12, v49, v10
	v_fma_f32 v13, v54, v13, -v8
	v_mul_f32_e32 v8, v51, v14
	s_delay_alu instid0(VALU_DEP_4) | instskip(SKIP_2) | instid1(VALU_DEP_4)
	v_dual_mul_f32 v49, v51, v15 :: v_dual_fmac_f32 v52, v48, v10
	v_mul_f32_e32 v51, v45, v21
	v_mul_f32_e32 v10, v45, v20
	v_fma_f32 v15, v50, v15, -v8
	v_mul_f32_e32 v45, v47, v29
	v_mul_f32_e32 v8, v47, v28
	v_fma_f32 v48, v48, v11, -v12
	v_fma_f32 v21, v44, v21, -v10
	s_delay_alu instid0(VALU_DEP_4) | instskip(NEXT) | instid1(VALU_DEP_4)
	v_dual_mul_f32 v10, v41, v22 :: v_dual_fmac_f32 v45, v46, v28
	v_fma_f32 v28, v46, v29, -v8
	v_mul_f32_e32 v8, v43, v30
	v_mul_f32_e32 v29, v43, v31
	v_dual_add_f32 v11, v16, v100 :: v_dual_add_f32 v12, v9, v13
	s_delay_alu instid0(VALU_DEP_3) | instskip(NEXT) | instid1(VALU_DEP_3)
	v_fma_f32 v31, v42, v31, -v8
	v_dual_fmac_f32 v29, v42, v30 :: v_dual_mul_f32 v42, v35, v99
	v_dual_fmac_f32 v51, v44, v20 :: v_dual_mul_f32 v44, v41, v23
	v_dual_mul_f32 v41, v37, v93 :: v_dual_mul_f32 v8, v39, v96
	v_sub_f32_e32 v20, v48, v15
	v_add_f32_e32 v30, v21, v28
	s_delay_alu instid0(VALU_DEP_4) | instskip(SKIP_3) | instid1(VALU_DEP_2)
	v_fmac_f32_e32 v44, v40, v22
	v_fma_f32 v40, v40, v23, -v10
	v_mul_f32_e32 v10, v37, v92
	v_dual_fmac_f32 v41, v36, v92 :: v_dual_fmac_f32 v42, v34, v98
	v_fma_f32 v36, v36, v93, -v10
	v_mul_f32_e32 v10, v33, v94
	s_delay_alu instid0(VALU_DEP_1) | instskip(SKIP_3) | instid1(VALU_DEP_3)
	v_fma_f32 v43, v32, v95, -v10
	v_dual_add_f32 v10, v100, v101 :: v_dual_fmac_f32 v49, v50, v14
	v_sub_f32_e32 v14, v9, v13
	v_mul_f32_e32 v37, v39, v97
	v_dual_mul_f32 v39, v33, v95 :: v_dual_sub_f32 v22, v52, v49
	s_delay_alu instid0(VALU_DEP_2) | instskip(SKIP_2) | instid1(VALU_DEP_1)
	v_fmac_f32_e32 v37, v38, v96
	v_fma_f32 v38, v38, v97, -v8
	v_dual_mul_f32 v8, v35, v98 :: v_dual_add_f32 v23, v24, v51
	v_fma_f32 v46, v34, v99, -v8
	v_fma_f32 v8, -0.5, v10, v16
	v_add_f32_e32 v10, v11, v101
	v_add_f32_e32 v11, v17, v9
	v_fma_f32 v9, -0.5, v12, v17
	v_sub_f32_e32 v16, v100, v101
	v_fmamk_f32 v12, v14, 0xbf5db3d7, v8
	v_fmac_f32_e32 v8, 0x3f5db3d7, v14
	v_dual_add_f32 v14, v52, v49 :: v_dual_add_f32 v17, v18, v52
	v_sub_f32_e32 v34, v44, v29
	s_delay_alu instid0(VALU_DEP_2)
	v_fma_f32 v18, -0.5, v14, v18
	v_fmac_f32_e32 v39, v32, v94
	v_add_f32_e32 v11, v11, v13
	v_dual_fmamk_f32 v13, v16, 0x3f5db3d7, v9 :: v_dual_sub_f32 v32, v21, v28
	v_dual_fmac_f32 v9, 0xbf5db3d7, v16 :: v_dual_add_f32 v16, v48, v15
	v_dual_add_f32 v14, v17, v49 :: v_dual_add_f32 v17, v19, v48
	v_sub_f32_e32 v33, v40, v31
	s_delay_alu instid0(VALU_DEP_3) | instskip(SKIP_2) | instid1(VALU_DEP_1)
	v_dual_fmac_f32 v19, -0.5, v16 :: v_dual_fmamk_f32 v16, v20, 0xbf5db3d7, v18
	v_fmac_f32_e32 v18, 0x3f5db3d7, v20
	v_add_f32_e32 v20, v51, v45
	v_fma_f32 v20, -0.5, v20, v24
	s_delay_alu instid0(VALU_DEP_1)
	v_dual_fmamk_f32 v24, v32, 0xbf5db3d7, v20 :: v_dual_add_f32 v15, v17, v15
	v_dual_fmac_f32 v20, 0x3f5db3d7, v32 :: v_dual_fmamk_f32 v17, v22, 0x3f5db3d7, v19
	v_dual_fmac_f32 v19, 0xbf5db3d7, v22 :: v_dual_add_f32 v32, v26, v44
	v_add_f32_e32 v22, v23, v45
	v_add_f32_e32 v23, v25, v21
	v_fma_f32 v21, -0.5, v30, v25
	v_sub_f32_e32 v30, v51, v45
	v_sub_f32_e32 v45, v39, v42
	s_delay_alu instid0(VALU_DEP_2) | instskip(SKIP_3) | instid1(VALU_DEP_2)
	v_fmamk_f32 v25, v30, 0x3f5db3d7, v21
	v_dual_fmac_f32 v21, 0xbf5db3d7, v30 :: v_dual_add_f32 v30, v40, v31
	v_dual_add_f32 v23, v23, v28 :: v_dual_add_f32 v28, v44, v29
	v_add_f32_e32 v44, v89, v36
	v_fma_f32 v26, -0.5, v28, v26
	v_add_f32_e32 v28, v32, v29
	v_add_f32_e32 v32, v27, v40
	v_sub_f32_e32 v40, v36, v38
	s_delay_alu instid0(VALU_DEP_2) | instskip(SKIP_3) | instid1(VALU_DEP_4)
	v_dual_add_f32 v29, v32, v31 :: v_dual_add_f32 v32, v41, v37
	v_dual_fmac_f32 v27, -0.5, v30 :: v_dual_fmamk_f32 v30, v33, 0xbf5db3d7, v26
	v_fmac_f32_e32 v26, 0x3f5db3d7, v33
	v_add_f32_e32 v33, v88, v41
	v_fma_f32 v32, -0.5, v32, v88
	v_sub_f32_e32 v41, v41, v37
	v_add_f32_e32 v35, v36, v38
	v_fmamk_f32 v31, v34, 0x3f5db3d7, v27
	s_delay_alu instid0(VALU_DEP_4)
	v_dual_fmac_f32 v27, 0xbf5db3d7, v34 :: v_dual_fmamk_f32 v36, v40, 0xbf5db3d7, v32
	v_add_f32_e32 v34, v33, v37
	v_fmac_f32_e32 v32, 0x3f5db3d7, v40
	v_fma_f32 v33, -0.5, v35, v89
	v_add_f32_e32 v35, v44, v38
	v_add_f32_e32 v38, v39, v42
	;; [unrolled: 1-line block ×3, first 2 shown]
	s_delay_alu instid0(VALU_DEP_4) | instskip(SKIP_4) | instid1(VALU_DEP_3)
	v_dual_sub_f32 v44, v43, v46 :: v_dual_fmamk_f32 v37, v41, 0x3f5db3d7, v33
	v_fmac_f32_e32 v33, 0xbf5db3d7, v41
	v_add_f32_e32 v41, v90, v39
	v_fma_f32 v90, -0.5, v38, v90
	v_add_f32_e32 v43, v91, v43
	v_dual_fmac_f32 v91, -0.5, v40 :: v_dual_add_f32 v38, v41, v42
	s_delay_alu instid0(VALU_DEP_3) | instskip(NEXT) | instid1(VALU_DEP_3)
	v_fmamk_f32 v40, v44, 0xbf5db3d7, v90
	v_dual_fmac_f32 v90, 0x3f5db3d7, v44 :: v_dual_add_f32 v39, v43, v46
	s_delay_alu instid0(VALU_DEP_3)
	v_fmamk_f32 v41, v45, 0x3f5db3d7, v91
	v_fmac_f32_e32 v91, 0xbf5db3d7, v45
	ds_store_2addr_b64 v184, v[10:11], v[12:13] offset1:33
	ds_store_b64 v184, v[8:9] offset:528
	ds_store_2addr_b64 v182, v[14:15], v[16:17] offset1:33
	ds_store_b64 v182, v[18:19] offset:528
	;; [unrolled: 2-line block ×6, first 2 shown]
	global_wb scope:SCOPE_SE
	s_wait_dscnt 0x0
	s_barrier_signal -1
	s_barrier_wait -1
	global_inv scope:SCOPE_SE
	ds_load_2addr_b64 v[8:11], v3 offset0:82 offset1:181
	ds_load_2addr_b64 v[12:15], v5 offset0:36 offset1:135
	ds_load_2addr_b64 v[16:19], v167 offset1:99
	ds_load_2addr_b64 v[20:23], v4 offset0:24 offset1:123
	ds_load_2addr_b64 v[24:27], v7 offset0:70 offset1:169
	;; [unrolled: 1-line block ×6, first 2 shown]
	global_wb scope:SCOPE_SE
	s_wait_dscnt 0x0
	s_barrier_signal -1
	s_barrier_wait -1
	global_inv scope:SCOPE_SE
	v_mul_f32_e32 v44, v73, v9
	v_dual_mul_f32 v45, v73, v8 :: v_dual_mul_f32 v46, v75, v13
	v_mul_f32_e32 v47, v75, v15
	s_delay_alu instid0(VALU_DEP_3) | instskip(SKIP_1) | instid1(VALU_DEP_4)
	v_dual_mul_f32 v49, v69, v21 :: v_dual_fmac_f32 v44, v72, v8
	v_mul_f32_e32 v8, v75, v12
	v_fmac_f32_e32 v46, v74, v12
	v_mul_f32_e32 v12, v73, v10
	v_dual_fmac_f32 v47, v74, v14 :: v_dual_mul_f32 v50, v71, v29
	s_delay_alu instid0(VALU_DEP_4) | instskip(SKIP_4) | instid1(VALU_DEP_4)
	v_fma_f32 v13, v74, v13, -v8
	v_mul_f32_e32 v8, v75, v14
	v_fma_f32 v9, v72, v9, -v45
	v_mul_f32_e32 v45, v73, v11
	v_dual_mul_f32 v51, v65, v23 :: v_dual_fmac_f32 v50, v70, v28
	v_fma_f32 v15, v74, v15, -v8
	s_delay_alu instid0(VALU_DEP_3) | instskip(SKIP_3) | instid1(VALU_DEP_4)
	v_dual_mul_f32 v8, v71, v28 :: v_dual_fmac_f32 v45, v72, v10
	v_mul_f32_e32 v10, v69, v20
	v_fmac_f32_e32 v49, v68, v20
	v_mul_f32_e32 v53, v61, v37
	v_fma_f32 v28, v70, v29, -v8
	v_mul_f32_e32 v29, v67, v31
	v_fma_f32 v21, v68, v21, -v10
	v_mul_f32_e32 v10, v65, v22
	v_mul_f32_e32 v8, v67, v30
	v_dual_fmac_f32 v51, v64, v22 :: v_dual_mul_f32 v54, v63, v41
	v_fmac_f32_e32 v53, v60, v36
	s_delay_alu instid0(VALU_DEP_4) | instskip(SKIP_4) | instid1(VALU_DEP_4)
	v_fma_f32 v52, v64, v23, -v10
	v_dual_mul_f32 v10, v61, v36 :: v_dual_fmac_f32 v29, v66, v30
	v_fma_f32 v31, v66, v31, -v8
	v_dual_mul_f32 v8, v63, v40 :: v_dual_mul_f32 v55, v57, v39
	v_fmac_f32_e32 v54, v62, v40
	v_fma_f32 v37, v60, v37, -v10
	v_mul_f32_e32 v10, v57, v38
	v_fma_f32 v48, v72, v11, -v12
	v_fma_f32 v40, v62, v41, -v8
	v_mul_f32_e32 v41, v59, v43
	v_dual_fmac_f32 v55, v56, v38 :: v_dual_add_f32 v12, v9, v13
	v_dual_mul_f32 v8, v59, v42 :: v_dual_add_f32 v11, v16, v44
	v_fma_f32 v56, v56, v39, -v10
	v_add_f32_e32 v10, v44, v46
	v_dual_fmac_f32 v41, v58, v42 :: v_dual_sub_f32 v14, v9, v13
	s_delay_alu instid0(VALU_DEP_4) | instskip(SKIP_1) | instid1(VALU_DEP_4)
	v_fma_f32 v43, v58, v43, -v8
	v_dual_sub_f32 v22, v45, v47 :: v_dual_add_f32 v23, v24, v49
	v_fma_f32 v8, -0.5, v10, v16
	v_dual_add_f32 v10, v11, v46 :: v_dual_add_f32 v11, v17, v9
	v_fma_f32 v9, -0.5, v12, v17
	v_dual_sub_f32 v16, v44, v46 :: v_dual_add_f32 v17, v18, v45
	s_delay_alu instid0(VALU_DEP_3) | instskip(SKIP_1) | instid1(VALU_DEP_3)
	v_dual_add_f32 v30, v21, v28 :: v_dual_add_f32 v11, v11, v13
	v_fmamk_f32 v12, v14, 0xbf5db3d7, v8
	v_dual_fmac_f32 v8, 0x3f5db3d7, v14 :: v_dual_fmamk_f32 v13, v16, 0x3f5db3d7, v9
	v_dual_add_f32 v14, v45, v47 :: v_dual_fmac_f32 v9, 0xbf5db3d7, v16
	v_add_f32_e32 v16, v48, v15
	v_sub_f32_e32 v20, v48, v15
	v_sub_f32_e32 v36, v21, v28
	s_delay_alu instid0(VALU_DEP_4) | instskip(SKIP_2) | instid1(VALU_DEP_3)
	v_fma_f32 v18, -0.5, v14, v18
	v_dual_add_f32 v14, v17, v47 :: v_dual_add_f32 v17, v19, v48
	v_fmac_f32_e32 v19, -0.5, v16
	v_dual_sub_f32 v39, v51, v29 :: v_dual_fmamk_f32 v16, v20, 0xbf5db3d7, v18
	s_delay_alu instid0(VALU_DEP_3) | instskip(NEXT) | instid1(VALU_DEP_3)
	v_dual_fmac_f32 v18, 0x3f5db3d7, v20 :: v_dual_add_f32 v15, v17, v15
	v_fmamk_f32 v17, v22, 0x3f5db3d7, v19
	v_fmac_f32_e32 v19, 0xbf5db3d7, v22
	v_dual_add_f32 v22, v23, v50 :: v_dual_add_f32 v23, v25, v21
	v_add_f32_e32 v20, v49, v50
	v_fma_f32 v21, -0.5, v30, v25
	v_sub_f32_e32 v30, v49, v50
	s_delay_alu instid0(VALU_DEP_4) | instskip(NEXT) | instid1(VALU_DEP_4)
	v_dual_sub_f32 v44, v53, v54 :: v_dual_add_f32 v23, v23, v28
	v_fma_f32 v20, -0.5, v20, v24
	s_delay_alu instid0(VALU_DEP_3) | instskip(SKIP_1) | instid1(VALU_DEP_3)
	v_dual_add_f32 v28, v51, v29 :: v_dual_fmamk_f32 v25, v30, 0x3f5db3d7, v21
	v_dual_fmac_f32 v21, 0xbf5db3d7, v30 :: v_dual_add_f32 v30, v52, v31
	v_fmamk_f32 v24, v36, 0xbf5db3d7, v20
	v_fmac_f32_e32 v20, 0x3f5db3d7, v36
	v_add_f32_e32 v36, v26, v51
	v_fma_f32 v26, -0.5, v28, v26
	v_sub_f32_e32 v38, v52, v31
	v_add_f32_e32 v46, v35, v56
	v_sub_f32_e32 v42, v37, v40
	v_add_f32_e32 v28, v36, v29
	v_dual_add_f32 v36, v27, v52 :: v_dual_fmac_f32 v27, -0.5, v30
	v_sub_f32_e32 v47, v55, v41
	ds_store_2addr_b64 v167, v[10:11], v[12:13] offset1:99
	ds_store_2addr_b64 v7, v[8:9], v[14:15] offset0:70 offset1:169
	v_add_nc_u32_e32 v9, 0x1800, v179
	v_add_f32_e32 v29, v36, v31
	v_fmamk_f32 v31, v39, 0x3f5db3d7, v27
	v_fmac_f32_e32 v27, 0xbf5db3d7, v39
	v_add_f32_e32 v39, v37, v40
	v_add_f32_e32 v36, v53, v54
	;; [unrolled: 1-line block ×3, first 2 shown]
	v_sub_f32_e32 v45, v56, v43
	v_add_nc_u32_e32 v11, 0x2c00, v186
	v_fma_f32 v33, -0.5, v39, v33
	v_fmamk_f32 v30, v38, 0xbf5db3d7, v26
	v_fmac_f32_e32 v26, 0x3f5db3d7, v38
	v_add_f32_e32 v38, v32, v53
	v_fma_f32 v32, -0.5, v36, v32
	v_dual_add_f32 v37, v37, v40 :: v_dual_add_f32 v40, v55, v41
	v_fmamk_f32 v39, v44, 0x3f5db3d7, v33
	v_dual_fmac_f32 v33, 0xbf5db3d7, v44 :: v_dual_add_f32 v44, v34, v55
	v_add_f32_e32 v36, v38, v54
	s_delay_alu instid0(VALU_DEP_4)
	v_fma_f32 v34, -0.5, v40, v34
	v_add_nc_u32_e32 v8, 0x1000, v178
	v_add_nc_u32_e32 v10, 0x2400, v180
	v_dual_add_f32 v40, v44, v41 :: v_dual_add_f32 v41, v46, v43
	v_fmamk_f32 v38, v42, 0xbf5db3d7, v32
	v_fmac_f32_e32 v32, 0x3f5db3d7, v42
	v_add_f32_e32 v42, v56, v43
	s_delay_alu instid0(VALU_DEP_1) | instskip(NEXT) | instid1(VALU_DEP_1)
	v_dual_fmac_f32 v35, -0.5, v42 :: v_dual_fmamk_f32 v42, v45, 0xbf5db3d7, v34
	v_dual_fmac_f32 v34, 0x3f5db3d7, v45 :: v_dual_fmamk_f32 v43, v47, 0x3f5db3d7, v35
	v_fmac_f32_e32 v35, 0xbf5db3d7, v47
	ds_store_2addr_b64 v2, v[16:17], v[18:19] offset0:140 offset1:239
	ds_store_2addr_b64 v8, v[22:23], v[24:25] offset0:82 offset1:181
	;; [unrolled: 1-line block ×5, first 2 shown]
	ds_store_b64 v178, v[20:21] offset:6336
	ds_store_b64 v179, v[26:27] offset:8712
	;; [unrolled: 1-line block ×4, first 2 shown]
	global_wb scope:SCOPE_SE
	s_wait_dscnt 0x0
	s_barrier_signal -1
	s_barrier_wait -1
	global_inv scope:SCOPE_SE
	ds_load_2addr_b64 v[8:11], v3 offset0:82 offset1:181
	ds_load_2addr_b64 v[12:15], v5 offset0:36 offset1:135
	ds_load_2addr_b64 v[16:19], v167 offset1:99
	ds_load_2addr_b64 v[20:23], v4 offset0:24 offset1:123
	ds_load_2addr_b64 v[24:27], v7 offset0:70 offset1:169
	;; [unrolled: 1-line block ×6, first 2 shown]
	global_wb scope:SCOPE_SE
	s_wait_dscnt 0x0
	s_barrier_signal -1
	s_barrier_wait -1
	global_inv scope:SCOPE_SE
	v_dual_mul_f32 v45, v85, v8 :: v_dual_mul_f32 v46, v87, v13
	v_mul_f32_e32 v47, v83, v15
	v_mul_f32_e32 v51, v85, v23
	;; [unrolled: 1-line block ×3, first 2 shown]
	s_delay_alu instid0(VALU_DEP_4)
	v_fma_f32 v9, v84, v9, -v45
	v_mul_f32_e32 v50, v79, v29
	v_mul_f32_e32 v53, v81, v37
	v_fmac_f32_e32 v51, v84, v22
	v_fmac_f32_e32 v44, v84, v8
	v_dual_mul_f32 v8, v87, v12 :: v_dual_mul_f32 v55, v77, v39
	v_mul_f32_e32 v45, v81, v11
	v_mul_f32_e32 v49, v77, v21
	v_fmac_f32_e32 v47, v82, v14
	s_delay_alu instid0(VALU_DEP_4) | instskip(SKIP_3) | instid1(VALU_DEP_3)
	v_fma_f32 v13, v86, v13, -v8
	v_mul_f32_e32 v8, v83, v14
	v_dual_fmac_f32 v50, v78, v28 :: v_dual_fmac_f32 v45, v80, v10
	v_dual_fmac_f32 v55, v76, v38 :: v_dual_mul_f32 v54, v83, v41
	v_fma_f32 v15, v82, v15, -v8
	v_mul_f32_e32 v8, v79, v28
	v_fmac_f32_e32 v53, v80, v36
	v_fmac_f32_e32 v49, v76, v20
	;; [unrolled: 1-line block ×3, first 2 shown]
	s_delay_alu instid0(VALU_DEP_4) | instskip(SKIP_2) | instid1(VALU_DEP_2)
	v_fma_f32 v28, v78, v29, -v8
	v_mul_f32_e32 v29, v87, v31
	v_mul_f32_e32 v8, v87, v30
	v_dual_sub_f32 v14, v9, v13 :: v_dual_fmac_f32 v29, v86, v30
	v_fmac_f32_e32 v46, v86, v12
	v_mul_f32_e32 v12, v81, v10
	v_mul_f32_e32 v10, v77, v20
	v_fma_f32 v31, v86, v31, -v8
	v_mul_f32_e32 v8, v83, v40
	s_delay_alu instid0(VALU_DEP_4) | instskip(NEXT) | instid1(VALU_DEP_4)
	v_fma_f32 v48, v80, v11, -v12
	v_fma_f32 v21, v76, v21, -v10
	v_mul_f32_e32 v10, v85, v22
	v_sub_f32_e32 v22, v45, v47
	v_fma_f32 v40, v82, v41, -v8
	v_mul_f32_e32 v41, v79, v43
	v_mul_f32_e32 v8, v79, v42
	v_fma_f32 v52, v84, v23, -v10
	v_mul_f32_e32 v10, v81, v36
	v_dual_add_f32 v11, v16, v44 :: v_dual_add_f32 v12, v9, v13
	s_delay_alu instid0(VALU_DEP_4) | instskip(SKIP_1) | instid1(VALU_DEP_4)
	v_fma_f32 v43, v78, v43, -v8
	v_add_f32_e32 v23, v24, v49
	v_fma_f32 v37, v80, v37, -v10
	v_mul_f32_e32 v10, v77, v38
	v_dual_sub_f32 v20, v48, v15 :: v_dual_fmac_f32 v41, v78, v42
	v_add_f32_e32 v30, v21, v28
	v_sub_f32_e32 v36, v21, v28
	s_delay_alu instid0(VALU_DEP_4) | instskip(SKIP_3) | instid1(VALU_DEP_3)
	v_fma_f32 v56, v76, v39, -v10
	v_dual_add_f32 v10, v44, v46 :: v_dual_sub_f32 v39, v51, v29
	v_sub_f32_e32 v38, v52, v31
	v_sub_f32_e32 v42, v37, v40
	v_fma_f32 v8, -0.5, v10, v16
	v_dual_add_f32 v10, v11, v46 :: v_dual_add_f32 v11, v17, v9
	v_fma_f32 v9, -0.5, v12, v17
	v_sub_f32_e32 v16, v44, v46
	s_delay_alu instid0(VALU_DEP_4) | instskip(SKIP_2) | instid1(VALU_DEP_4)
	v_fmamk_f32 v12, v14, 0xbf5db3d7, v8
	v_fmac_f32_e32 v8, 0x3f5db3d7, v14
	v_dual_add_f32 v14, v45, v47 :: v_dual_add_f32 v11, v11, v13
	v_fmamk_f32 v13, v16, 0x3f5db3d7, v9
	v_add_f32_e32 v17, v18, v45
	v_dual_fmac_f32 v9, 0xbf5db3d7, v16 :: v_dual_add_f32 v16, v48, v15
	s_delay_alu instid0(VALU_DEP_4) | instskip(SKIP_1) | instid1(VALU_DEP_4)
	v_fma_f32 v18, -0.5, v14, v18
	v_sub_f32_e32 v44, v53, v54
	v_dual_add_f32 v14, v17, v47 :: v_dual_add_f32 v17, v19, v48
	s_delay_alu instid0(VALU_DEP_3) | instskip(SKIP_2) | instid1(VALU_DEP_4)
	v_dual_fmac_f32 v19, -0.5, v16 :: v_dual_fmamk_f32 v16, v20, 0xbf5db3d7, v18
	v_fmac_f32_e32 v18, 0x3f5db3d7, v20
	v_dual_add_f32 v20, v49, v50 :: v_dual_sub_f32 v45, v56, v43
	v_add_f32_e32 v15, v17, v15
	s_delay_alu instid0(VALU_DEP_4) | instskip(SKIP_1) | instid1(VALU_DEP_4)
	v_fmamk_f32 v17, v22, 0x3f5db3d7, v19
	v_fmac_f32_e32 v19, 0xbf5db3d7, v22
	v_fma_f32 v20, -0.5, v20, v24
	v_dual_add_f32 v22, v23, v50 :: v_dual_add_f32 v23, v25, v21
	v_fma_f32 v21, -0.5, v30, v25
	v_add_f32_e32 v46, v35, v56
	v_dual_sub_f32 v30, v49, v50 :: v_dual_sub_f32 v47, v55, v41
	v_fmamk_f32 v24, v36, 0xbf5db3d7, v20
	v_fmac_f32_e32 v20, 0x3f5db3d7, v36
	v_add_f32_e32 v23, v23, v28
	v_add_f32_e32 v28, v51, v29
	;; [unrolled: 1-line block ×3, first 2 shown]
	v_fmamk_f32 v25, v30, 0x3f5db3d7, v21
	v_dual_fmac_f32 v21, 0xbf5db3d7, v30 :: v_dual_add_f32 v30, v52, v31
	s_delay_alu instid0(VALU_DEP_4) | instskip(NEXT) | instid1(VALU_DEP_4)
	v_fma_f32 v26, -0.5, v28, v26
	v_add_f32_e32 v28, v36, v29
	s_delay_alu instid0(VALU_DEP_3) | instskip(NEXT) | instid1(VALU_DEP_3)
	v_dual_add_f32 v36, v27, v52 :: v_dual_fmac_f32 v27, -0.5, v30
	v_fmamk_f32 v30, v38, 0xbf5db3d7, v26
	s_delay_alu instid0(VALU_DEP_2) | instskip(NEXT) | instid1(VALU_DEP_3)
	v_dual_fmac_f32 v26, 0x3f5db3d7, v38 :: v_dual_add_f32 v29, v36, v31
	v_dual_add_f32 v36, v53, v54 :: v_dual_fmamk_f32 v31, v39, 0x3f5db3d7, v27
	v_dual_add_f32 v38, v32, v53 :: v_dual_fmac_f32 v27, 0xbf5db3d7, v39
	v_add_f32_e32 v39, v37, v40
	s_delay_alu instid0(VALU_DEP_3) | instskip(NEXT) | instid1(VALU_DEP_3)
	v_fma_f32 v32, -0.5, v36, v32
	v_dual_add_f32 v37, v33, v37 :: v_dual_add_f32 v36, v38, v54
	s_delay_alu instid0(VALU_DEP_3) | instskip(NEXT) | instid1(VALU_DEP_3)
	v_fma_f32 v33, -0.5, v39, v33
	v_fmamk_f32 v38, v42, 0xbf5db3d7, v32
	s_delay_alu instid0(VALU_DEP_3) | instskip(SKIP_4) | instid1(VALU_DEP_4)
	v_dual_fmac_f32 v32, 0x3f5db3d7, v42 :: v_dual_add_f32 v37, v37, v40
	v_add_f32_e32 v40, v55, v41
	v_add_f32_e32 v42, v56, v43
	v_fmamk_f32 v39, v44, 0x3f5db3d7, v33
	v_dual_fmac_f32 v33, 0xbf5db3d7, v44 :: v_dual_add_f32 v44, v34, v55
	v_fma_f32 v34, -0.5, v40, v34
	s_delay_alu instid0(VALU_DEP_2) | instskip(NEXT) | instid1(VALU_DEP_2)
	v_dual_fmac_f32 v35, -0.5, v42 :: v_dual_add_f32 v40, v44, v41
	v_fmamk_f32 v42, v45, 0xbf5db3d7, v34
	v_dual_fmac_f32 v34, 0x3f5db3d7, v45 :: v_dual_add_f32 v41, v46, v43
	s_delay_alu instid0(VALU_DEP_3)
	v_fmamk_f32 v43, v47, 0x3f5db3d7, v35
	v_fmac_f32_e32 v35, 0xbf5db3d7, v47
	ds_store_2addr_b64 v167, v[10:11], v[14:15] offset1:99
	ds_store_2addr_b64 v3, v[8:9], v[18:19] offset0:82 offset1:181
	ds_store_2addr_b64 v7, v[22:23], v[12:13] offset0:70 offset1:169
	;; [unrolled: 1-line block ×8, first 2 shown]
	global_wb scope:SCOPE_SE
	s_wait_dscnt 0x0
	s_barrier_signal -1
	s_barrier_wait -1
	global_inv scope:SCOPE_SE
	ds_load_2addr_b64 v[8:11], v4 offset0:24 offset1:123
	ds_load_2addr_b64 v[12:15], v1 offset0:94 offset1:193
	;; [unrolled: 1-line block ×3, first 2 shown]
	ds_load_2addr_b64 v[20:23], v167 offset1:99
	ds_load_2addr_b64 v[24:27], v7 offset0:70 offset1:169
	ds_load_2addr_b64 v[28:31], v0 offset0:106 offset1:205
	;; [unrolled: 1-line block ×5, first 2 shown]
	s_wait_dscnt 0x8
	v_mul_f32_e32 v44, v158, v11
	s_wait_dscnt 0x7
	v_dual_mul_f32 v45, v158, v10 :: v_dual_mul_f32 v46, v160, v13
	s_wait_dscnt 0x6
	v_dual_mul_f32 v47, v164, v15 :: v_dual_mul_f32 v48, v154, v17
	v_fmac_f32_e32 v44, v157, v10
	v_mul_f32_e32 v10, v160, v12
	v_fma_f32 v11, v157, v11, -v45
	v_dual_mul_f32 v45, v164, v14 :: v_dual_fmac_f32 v46, v159, v12
	v_mul_f32_e32 v12, v162, v18
	s_delay_alu instid0(VALU_DEP_4)
	v_fma_f32 v13, v159, v13, -v10
	v_mul_f32_e32 v10, v154, v16
	s_wait_dscnt 0x3
	v_dual_mul_f32 v50, v150, v29 :: v_dual_fmac_f32 v47, v163, v14
	v_fma_f32 v45, v163, v15, -v45
	v_mul_f32_e32 v49, v162, v19
	v_fma_f32 v51, v153, v17, -v10
	v_mul_f32_e32 v10, v150, v28
	v_fmac_f32_e32 v48, v153, v16
	v_fma_f32 v52, v161, v19, -v12
	v_mul_f32_e32 v12, v152, v30
	s_wait_dscnt 0x0
	v_mul_f32_e32 v54, v156, v41
	v_fma_f32 v29, v149, v29, -v10
	v_mul_f32_e32 v10, v156, v40
	v_dual_mul_f32 v14, v148, v42 :: v_dual_sub_f32 v11, v21, v11
	v_fmac_f32_e32 v49, v161, v18
	v_mul_f32_e32 v53, v152, v31
	s_delay_alu instid0(VALU_DEP_4)
	v_fma_f32 v41, v155, v41, -v10
	v_sub_f32_e32 v10, v20, v44
	v_fma_f32 v55, v151, v31, -v12
	v_mul_f32_e32 v56, v148, v43
	v_sub_f32_e32 v12, v22, v46
	v_fma_f32 v43, v147, v43, -v14
	v_fma_f32 v14, v20, 2.0, -v10
	v_fma_f32 v15, v21, 2.0, -v11
	v_dual_sub_f32 v13, v23, v13 :: v_dual_sub_f32 v18, v24, v47
	v_dual_sub_f32 v19, v25, v45 :: v_dual_sub_f32 v20, v26, v48
	v_dual_sub_f32 v21, v27, v51 :: v_dual_fmac_f32 v50, v149, v28
	v_fmac_f32_e32 v53, v151, v30
	v_fmac_f32_e32 v54, v155, v40
	;; [unrolled: 1-line block ×3, first 2 shown]
	v_fma_f32 v16, v22, 2.0, -v12
	v_fma_f32 v17, v23, 2.0, -v13
	;; [unrolled: 1-line block ×5, first 2 shown]
	v_sub_f32_e32 v26, v32, v49
	v_fma_f32 v25, v27, 2.0, -v21
	v_dual_sub_f32 v27, v33, v52 :: v_dual_sub_f32 v28, v34, v50
	v_sub_f32_e32 v29, v35, v29
	s_delay_alu instid0(VALU_DEP_4) | instskip(SKIP_1) | instid1(VALU_DEP_4)
	v_fma_f32 v30, v32, 2.0, -v26
	v_sub_f32_e32 v32, v36, v53
	v_fma_f32 v31, v33, 2.0, -v27
	v_dual_sub_f32 v33, v37, v55 :: v_dual_sub_f32 v40, v38, v54
	v_dual_sub_f32 v41, v39, v41 :: v_dual_sub_f32 v42, v8, v56
	v_sub_f32_e32 v43, v9, v43
	v_fma_f32 v34, v34, 2.0, -v28
	v_fma_f32 v35, v35, 2.0, -v29
	;; [unrolled: 1-line block ×8, first 2 shown]
	ds_store_2addr_b64 v167, v[14:15], v[16:17] offset1:99
	ds_store_2addr_b64 v1, v[12:13], v[18:19] offset0:94 offset1:193
	ds_store_2addr_b64 v7, v[22:23], v[24:25] offset0:70 offset1:169
	ds_store_2addr_b64 v5, v[20:21], v[26:27] offset0:36 offset1:135
	ds_store_2addr_b64 v2, v[30:31], v[34:35] offset0:140 offset1:239
	ds_store_2addr_b64 v0, v[28:29], v[32:33] offset0:106 offset1:205
	ds_store_2addr_b64 v3, v[36:37], v[38:39] offset0:82 offset1:181
	ds_store_2addr_b64 v4, v[8:9], v[10:11] offset0:24 offset1:123
	ds_store_2addr_b64 v6, v[40:41], v[42:43] offset0:48 offset1:147
	global_wb scope:SCOPE_SE
	s_wait_dscnt 0x0
	s_barrier_signal -1
	s_barrier_wait -1
	global_inv scope:SCOPE_SE
	ds_load_2addr_b64 v[3:6], v167 offset1:162
	v_mad_co_u64_u32 v[21:22], null, s4, v168, 0
	v_mad_co_u64_u32 v[15:16], null, s6, v122, 0
	s_wait_dscnt 0x0
	v_mul_f32_e32 v8, v144, v3
	v_mul_f32_e32 v7, v144, v4
	s_delay_alu instid0(VALU_DEP_2) | instskip(NEXT) | instid1(VALU_DEP_2)
	v_fma_f32 v8, v143, v4, -v8
	v_fmac_f32_e32 v7, v143, v3
	s_delay_alu instid0(VALU_DEP_2) | instskip(NEXT) | instid1(VALU_DEP_2)
	v_cvt_f64_f32_e32 v[11:12], v8
	v_cvt_f64_f32_e32 v[3:4], v7
	ds_load_2addr_b64 v[7:10], v2 offset0:68 offset1:230
	s_wait_dscnt 0x0
	v_dual_mul_f32 v31, v126, v10 :: v_dual_add_nc_u32 v2, 0x1400, v167
	s_delay_alu instid0(VALU_DEP_1) | instskip(SKIP_1) | instid1(VALU_DEP_2)
	v_fmac_f32_e32 v31, v125, v9
	v_mul_f32_e32 v9, v126, v9
	v_cvt_f64_f32_e32 v[31:32], v31
	s_delay_alu instid0(VALU_DEP_2)
	v_fma_f32 v9, v125, v10, -v9
	s_wait_alu 0xfffe
	v_mul_f64_e32 v[19:20], s[2:3], v[11:12]
	ds_load_2addr_b64 v[11:14], v2 offset0:8 offset1:170
	v_mul_f64_e32 v[17:18], s[2:3], v[3:4]
	v_mul_f32_e32 v3, v140, v6
	v_mul_f32_e32 v2, v140, v5
	;; [unrolled: 1-line block ×3, first 2 shown]
	v_cvt_f64_f32_e32 v[9:10], v9
	s_delay_alu instid0(VALU_DEP_4) | instskip(NEXT) | instid1(VALU_DEP_4)
	v_fmac_f32_e32 v3, v139, v5
	v_fma_f32 v2, v139, v6, -v2
	s_delay_alu instid0(VALU_DEP_4) | instskip(SKIP_1) | instid1(VALU_DEP_4)
	v_fmac_f32_e32 v4, v141, v7
	v_mul_f32_e32 v5, v142, v7
	v_cvt_f64_f32_e32 v[23:24], v3
	s_delay_alu instid0(VALU_DEP_4) | instskip(NEXT) | instid1(VALU_DEP_4)
	v_cvt_f64_f32_e32 v[25:26], v2
	v_cvt_f64_f32_e32 v[27:28], v4
	ds_load_2addr_b64 v[1:4], v1 offset0:76 offset1:238
	v_fma_f32 v5, v141, v8, -v5
	s_wait_dscnt 0x1
	v_mul_f32_e32 v35, v134, v13
	s_delay_alu instid0(VALU_DEP_2)
	v_cvt_f64_f32_e32 v[29:30], v5
	ds_load_2addr_b64 v[5:8], v0 offset0:16 offset1:178
	v_mul_f32_e32 v0, v132, v12
	v_mul_f32_e32 v33, v132, v11
	v_fma_f32 v37, v133, v14, -v35
	ds_load_b64 v[35:36], v167 offset:12960
	v_mul_f32_e32 v34, v134, v14
	v_fmac_f32_e32 v0, v131, v11
	v_fma_f32 v33, v131, v12, -v33
	v_cvt_f64_f32_e32 v[37:38], v37
	s_delay_alu instid0(VALU_DEP_4) | instskip(NEXT) | instid1(VALU_DEP_4)
	v_fmac_f32_e32 v34, v133, v13
	v_cvt_f64_f32_e32 v[11:12], v0
	s_delay_alu instid0(VALU_DEP_4)
	v_cvt_f64_f32_e32 v[13:14], v33
	s_wait_dscnt 0x2
	v_mul_f32_e32 v41, v128, v3
	v_mul_f32_e32 v40, v128, v4
	;; [unrolled: 1-line block ×4, first 2 shown]
	v_cvt_f64_f32_e32 v[33:34], v34
	v_fma_f32 v4, v127, v4, -v41
	s_wait_dscnt 0x1
	v_dual_fmac_f32 v40, v127, v3 :: v_dual_mul_f32 v43, v130, v6
	v_dual_mul_f32 v45, v136, v8 :: v_dual_fmac_f32 v0, v123, v1
	s_delay_alu instid0(VALU_DEP_3)
	v_cvt_f64_f32_e32 v[41:42], v4
	s_wait_dscnt 0x0
	v_mul_f32_e32 v47, v138, v35
	v_mul_f32_e32 v4, v130, v5
	v_fmac_f32_e32 v43, v129, v5
	v_dual_mul_f32 v5, v136, v7 :: v_dual_mul_f32 v46, v138, v36
	v_fma_f32 v2, v123, v2, -v39
	s_delay_alu instid0(VALU_DEP_4) | instskip(SKIP_1) | instid1(VALU_DEP_4)
	v_fma_f32 v4, v129, v6, -v4
	v_fmac_f32_e32 v45, v135, v7
	v_fma_f32 v8, v135, v8, -v5
	v_fmac_f32_e32 v46, v137, v35
	v_fma_f32 v47, v137, v36, -v47
	v_cvt_f64_f32_e32 v[0:1], v0
	v_cvt_f64_f32_e32 v[2:3], v2
	;; [unrolled: 1-line block ×9, first 2 shown]
	v_mov_b32_e32 v8, v22
	v_mul_f64_e32 v[23:24], s[2:3], v[23:24]
	v_mul_f64_e32 v[25:26], s[2:3], v[25:26]
	v_mad_co_u64_u32 v[49:50], null, s7, v122, v[16:17]
	s_delay_alu instid0(VALU_DEP_4)
	v_mad_co_u64_u32 v[50:51], null, s5, v168, v[8:9]
	v_cvt_f32_f64_e32 v17, v[17:18]
	v_mul_f64_e32 v[27:28], s[2:3], v[27:28]
	v_mul_f64_e32 v[29:30], s[2:3], v[29:30]
	v_cvt_f32_f64_e32 v18, v[19:20]
	v_mul_f64_e32 v[19:20], s[2:3], v[31:32]
	v_mul_f64_e32 v[8:9], s[2:3], v[9:10]
	;; [unrolled: 1-line block ×4, first 2 shown]
	v_mov_b32_e32 v16, v49
	v_mov_b32_e32 v22, v50
	v_mul_f64_e32 v[31:32], s[2:3], v[37:38]
	v_mul_f64_e32 v[37:38], s[2:3], v[41:42]
	s_delay_alu instid0(VALU_DEP_4) | instskip(NEXT) | instid1(VALU_DEP_1)
	v_lshlrev_b64_e32 v[15:16], 3, v[15:16]
	v_add_co_u32 v49, s0, s10, v15
	v_lshlrev_b64_e32 v[14:15], 3, v[21:22]
	v_mul_f64_e32 v[21:22], s[2:3], v[33:34]
	v_mul_f64_e32 v[0:1], s[2:3], v[0:1]
	;; [unrolled: 1-line block ×10, first 2 shown]
	s_wait_alu 0xf1ff
	v_add_co_ci_u32_e64 v16, s0, s11, v16, s0
	v_cvt_f32_f64_e32 v23, v[23:24]
	v_cvt_f32_f64_e32 v24, v[25:26]
	v_add_co_u32 v14, s0, v49, v14
	s_wait_alu 0xf1ff
	v_add_co_ci_u32_e64 v15, s0, v16, v15, s0
	s_mul_u64 s[0:1], s[4:5], 0xa2
	v_cvt_f32_f64_e32 v27, v[27:28]
	v_cvt_f32_f64_e32 v28, v[29:30]
	;; [unrolled: 1-line block ×4, first 2 shown]
	s_wait_alu 0xfffe
	s_lshl_b64 s[6:7], s[0:1], 3
	v_cvt_f32_f64_e32 v8, v[10:11]
	s_wait_alu 0xfffe
	v_add_co_u32 v25, s0, v14, s6
	s_wait_alu 0xf1ff
	v_add_co_ci_u32_e64 v26, s0, s7, v15, s0
	v_cvt_f32_f64_e32 v9, v[12:13]
	s_delay_alu instid0(VALU_DEP_3) | instskip(SKIP_1) | instid1(VALU_DEP_3)
	v_add_co_u32 v29, s0, v25, s6
	s_wait_alu 0xf1ff
	v_add_co_ci_u32_e64 v30, s0, s7, v26, s0
	v_cvt_f32_f64_e32 v13, v[31:32]
	s_delay_alu instid0(VALU_DEP_3) | instskip(SKIP_1) | instid1(VALU_DEP_3)
	v_add_co_u32 v10, s0, v29, s6
	s_wait_alu 0xf1ff
	v_add_co_ci_u32_e64 v11, s0, s7, v30, s0
	v_cvt_f32_f64_e32 v12, v[21:22]
	v_cvt_f32_f64_e32 v21, v[0:1]
	;; [unrolled: 1-line block ×5, first 2 shown]
	v_add_co_u32 v0, s0, v10, s6
	v_cvt_f32_f64_e32 v31, v[39:40]
	v_cvt_f32_f64_e32 v32, v[4:5]
	;; [unrolled: 1-line block ×4, first 2 shown]
	s_wait_alu 0xf1ff
	v_add_co_ci_u32_e64 v1, s0, s7, v11, s0
	v_cvt_f32_f64_e32 v6, v[41:42]
	v_cvt_f32_f64_e32 v7, v[43:44]
	global_store_b64 v[14:15], v[17:18], off
	v_add_co_u32 v14, s0, v0, s6
	s_wait_alu 0xf1ff
	v_add_co_ci_u32_e64 v15, s0, s7, v1, s0
	global_store_b64 v[25:26], v[23:24], off
	v_add_co_u32 v16, s0, v14, s6
	s_wait_alu 0xf1ff
	v_add_co_ci_u32_e64 v17, s0, s7, v15, s0
	;; [unrolled: 4-line block ×6, first 2 shown]
	global_store_b64 v[16:17], v[21:22], off
	global_store_b64 v[23:24], v[2:3], off
	global_store_b64 v[10:11], v[31:32], off
	global_store_b64 v[8:9], v[4:5], off
	global_store_b64 v[0:1], v[6:7], off
	s_and_b32 exec_lo, exec_lo, vcc_lo
	s_cbranch_execz .LBB0_15
; %bb.14:
	global_load_b64 v[6:7], v[120:121], off offset:792
	v_add_nc_u32_e32 v2, 0x200, v167
	v_mad_co_u64_u32 v[0:1], null, 0xffffd078, s4, v[0:1]
	s_mul_i32 s0, s5, 0xffffd078
	ds_load_2addr_b64 v[2:5], v2 offset0:35 offset1:197
	s_wait_alu 0xfffe
	s_sub_co_i32 s0, s0, s4
	s_wait_loadcnt_dscnt 0x0
	s_wait_alu 0xfffe
	v_dual_mul_f32 v8, v3, v7 :: v_dual_add_nc_u32 v1, s0, v1
	v_mul_f32_e32 v7, v2, v7
	s_delay_alu instid0(VALU_DEP_2) | instskip(NEXT) | instid1(VALU_DEP_2)
	v_fmac_f32_e32 v8, v2, v6
	v_fma_f32 v6, v6, v3, -v7
	s_delay_alu instid0(VALU_DEP_2) | instskip(NEXT) | instid1(VALU_DEP_2)
	v_cvt_f64_f32_e32 v[2:3], v8
	v_cvt_f64_f32_e32 v[6:7], v6
	s_delay_alu instid0(VALU_DEP_2) | instskip(NEXT) | instid1(VALU_DEP_2)
	v_mul_f64_e32 v[2:3], s[2:3], v[2:3]
	v_mul_f64_e32 v[6:7], s[2:3], v[6:7]
	s_delay_alu instid0(VALU_DEP_2) | instskip(NEXT) | instid1(VALU_DEP_2)
	v_cvt_f32_f64_e32 v2, v[2:3]
	v_cvt_f32_f64_e32 v3, v[6:7]
	global_store_b64 v[0:1], v[2:3], off
	global_load_b64 v[2:3], v[120:121], off offset:2088
	s_wait_loadcnt 0x0
	v_mul_f32_e32 v6, v5, v3
	v_mul_f32_e32 v3, v4, v3
	s_delay_alu instid0(VALU_DEP_2) | instskip(NEXT) | instid1(VALU_DEP_2)
	v_fmac_f32_e32 v6, v4, v2
	v_fma_f32 v4, v2, v5, -v3
	s_delay_alu instid0(VALU_DEP_2) | instskip(NEXT) | instid1(VALU_DEP_2)
	v_cvt_f64_f32_e32 v[2:3], v6
	v_cvt_f64_f32_e32 v[4:5], v4
	s_delay_alu instid0(VALU_DEP_2) | instskip(NEXT) | instid1(VALU_DEP_2)
	v_mul_f64_e32 v[2:3], s[2:3], v[2:3]
	v_mul_f64_e32 v[4:5], s[2:3], v[4:5]
	s_delay_alu instid0(VALU_DEP_2) | instskip(NEXT) | instid1(VALU_DEP_2)
	v_cvt_f32_f64_e32 v2, v[2:3]
	v_cvt_f32_f64_e32 v3, v[4:5]
	v_add_co_u32 v4, vcc_lo, v0, s6
	s_wait_alu 0xfffd
	v_add_co_ci_u32_e32 v5, vcc_lo, s7, v1, vcc_lo
	v_add_nc_u32_e32 v0, 0xc00, v167
	global_store_b64 v[4:5], v[2:3], off
	global_load_b64 v[6:7], v[120:121], off offset:3384
	ds_load_2addr_b64 v[0:3], v0 offset0:39 offset1:201
	v_add_co_u32 v4, vcc_lo, v4, s6
	s_wait_alu 0xfffd
	v_add_co_ci_u32_e32 v5, vcc_lo, s7, v5, vcc_lo
	s_wait_loadcnt_dscnt 0x0
	v_mul_f32_e32 v8, v1, v7
	v_mul_f32_e32 v7, v0, v7
	s_delay_alu instid0(VALU_DEP_2) | instskip(NEXT) | instid1(VALU_DEP_2)
	v_fmac_f32_e32 v8, v0, v6
	v_fma_f32 v6, v6, v1, -v7
	s_delay_alu instid0(VALU_DEP_2) | instskip(NEXT) | instid1(VALU_DEP_2)
	v_cvt_f64_f32_e32 v[0:1], v8
	v_cvt_f64_f32_e32 v[6:7], v6
	s_delay_alu instid0(VALU_DEP_2) | instskip(NEXT) | instid1(VALU_DEP_2)
	v_mul_f64_e32 v[0:1], s[2:3], v[0:1]
	v_mul_f64_e32 v[6:7], s[2:3], v[6:7]
	s_delay_alu instid0(VALU_DEP_2) | instskip(NEXT) | instid1(VALU_DEP_2)
	v_cvt_f32_f64_e32 v0, v[0:1]
	v_cvt_f32_f64_e32 v1, v[6:7]
	global_store_b64 v[4:5], v[0:1], off
	global_load_b64 v[0:1], v[120:121], off offset:4680
	v_add_co_u32 v4, vcc_lo, v4, s6
	s_wait_alu 0xfffd
	v_add_co_ci_u32_e32 v5, vcc_lo, s7, v5, vcc_lo
	s_wait_loadcnt 0x0
	v_mul_f32_e32 v6, v3, v1
	v_mul_f32_e32 v1, v2, v1
	s_delay_alu instid0(VALU_DEP_2) | instskip(NEXT) | instid1(VALU_DEP_2)
	v_fmac_f32_e32 v6, v2, v0
	v_fma_f32 v2, v0, v3, -v1
	s_delay_alu instid0(VALU_DEP_2) | instskip(NEXT) | instid1(VALU_DEP_2)
	v_cvt_f64_f32_e32 v[0:1], v6
	v_cvt_f64_f32_e32 v[2:3], v2
	s_delay_alu instid0(VALU_DEP_2) | instskip(NEXT) | instid1(VALU_DEP_2)
	v_mul_f64_e32 v[0:1], s[2:3], v[0:1]
	v_mul_f64_e32 v[2:3], s[2:3], v[2:3]
	s_delay_alu instid0(VALU_DEP_2) | instskip(NEXT) | instid1(VALU_DEP_2)
	v_cvt_f32_f64_e32 v0, v[0:1]
	v_cvt_f32_f64_e32 v1, v[2:3]
	global_store_b64 v[4:5], v[0:1], off
	global_load_b64 v[6:7], v[120:121], off offset:5976
	v_add_nc_u32_e32 v0, 0x1600, v167
	v_add_co_u32 v4, vcc_lo, v4, s6
	s_wait_alu 0xfffd
	v_add_co_ci_u32_e32 v5, vcc_lo, s7, v5, vcc_lo
	ds_load_2addr_b64 v[0:3], v0 offset0:43 offset1:205
	s_wait_loadcnt_dscnt 0x0
	v_mul_f32_e32 v8, v1, v7
	v_mul_f32_e32 v7, v0, v7
	s_delay_alu instid0(VALU_DEP_2) | instskip(NEXT) | instid1(VALU_DEP_2)
	v_fmac_f32_e32 v8, v0, v6
	v_fma_f32 v6, v6, v1, -v7
	s_delay_alu instid0(VALU_DEP_2) | instskip(NEXT) | instid1(VALU_DEP_2)
	v_cvt_f64_f32_e32 v[0:1], v8
	v_cvt_f64_f32_e32 v[6:7], v6
	s_delay_alu instid0(VALU_DEP_2) | instskip(NEXT) | instid1(VALU_DEP_2)
	v_mul_f64_e32 v[0:1], s[2:3], v[0:1]
	v_mul_f64_e32 v[6:7], s[2:3], v[6:7]
	s_delay_alu instid0(VALU_DEP_2) | instskip(NEXT) | instid1(VALU_DEP_2)
	v_cvt_f32_f64_e32 v0, v[0:1]
	v_cvt_f32_f64_e32 v1, v[6:7]
	global_store_b64 v[4:5], v[0:1], off
	global_load_b64 v[0:1], v[120:121], off offset:7272
	v_add_co_u32 v4, vcc_lo, v4, s6
	s_wait_alu 0xfffd
	v_add_co_ci_u32_e32 v5, vcc_lo, s7, v5, vcc_lo
	s_wait_loadcnt 0x0
	v_mul_f32_e32 v6, v3, v1
	v_mul_f32_e32 v1, v2, v1
	s_delay_alu instid0(VALU_DEP_2) | instskip(NEXT) | instid1(VALU_DEP_2)
	v_fmac_f32_e32 v6, v2, v0
	v_fma_f32 v2, v0, v3, -v1
	s_delay_alu instid0(VALU_DEP_2) | instskip(NEXT) | instid1(VALU_DEP_2)
	v_cvt_f64_f32_e32 v[0:1], v6
	v_cvt_f64_f32_e32 v[2:3], v2
	s_delay_alu instid0(VALU_DEP_2) | instskip(NEXT) | instid1(VALU_DEP_2)
	v_mul_f64_e32 v[0:1], s[2:3], v[0:1]
	v_mul_f64_e32 v[2:3], s[2:3], v[2:3]
	s_delay_alu instid0(VALU_DEP_2) | instskip(NEXT) | instid1(VALU_DEP_2)
	v_cvt_f32_f64_e32 v0, v[0:1]
	v_cvt_f32_f64_e32 v1, v[2:3]
	global_store_b64 v[4:5], v[0:1], off
	global_load_b64 v[6:7], v[120:121], off offset:8568
	v_add_nc_u32_e32 v0, 0x2000, v167
	v_add_co_u32 v4, vcc_lo, v4, s6
	s_wait_alu 0xfffd
	v_add_co_ci_u32_e32 v5, vcc_lo, s7, v5, vcc_lo
	ds_load_2addr_b64 v[0:3], v0 offset0:47 offset1:209
	;; [unrolled: 42-line block ×3, first 2 shown]
	s_wait_loadcnt_dscnt 0x0
	v_mul_f32_e32 v8, v1, v7
	v_mul_f32_e32 v7, v0, v7
	s_delay_alu instid0(VALU_DEP_2) | instskip(NEXT) | instid1(VALU_DEP_2)
	v_fmac_f32_e32 v8, v0, v6
	v_fma_f32 v6, v6, v1, -v7
	s_delay_alu instid0(VALU_DEP_2) | instskip(NEXT) | instid1(VALU_DEP_2)
	v_cvt_f64_f32_e32 v[0:1], v8
	v_cvt_f64_f32_e32 v[6:7], v6
	s_delay_alu instid0(VALU_DEP_2) | instskip(NEXT) | instid1(VALU_DEP_2)
	v_mul_f64_e32 v[0:1], s[2:3], v[0:1]
	v_mul_f64_e32 v[6:7], s[2:3], v[6:7]
	s_delay_alu instid0(VALU_DEP_2) | instskip(NEXT) | instid1(VALU_DEP_2)
	v_cvt_f32_f64_e32 v0, v[0:1]
	v_cvt_f32_f64_e32 v1, v[6:7]
	global_store_b64 v[4:5], v[0:1], off
	global_load_b64 v[0:1], v[120:121], off offset:12456
	s_wait_loadcnt 0x0
	v_mul_f32_e32 v6, v3, v1
	v_mul_f32_e32 v1, v2, v1
	s_delay_alu instid0(VALU_DEP_2) | instskip(NEXT) | instid1(VALU_DEP_2)
	v_fmac_f32_e32 v6, v2, v0
	v_fma_f32 v2, v0, v3, -v1
	s_delay_alu instid0(VALU_DEP_2) | instskip(NEXT) | instid1(VALU_DEP_2)
	v_cvt_f64_f32_e32 v[0:1], v6
	v_cvt_f64_f32_e32 v[2:3], v2
	s_delay_alu instid0(VALU_DEP_2) | instskip(NEXT) | instid1(VALU_DEP_2)
	v_mul_f64_e32 v[0:1], s[2:3], v[0:1]
	v_mul_f64_e32 v[2:3], s[2:3], v[2:3]
	s_delay_alu instid0(VALU_DEP_2) | instskip(NEXT) | instid1(VALU_DEP_2)
	v_cvt_f32_f64_e32 v0, v[0:1]
	v_cvt_f32_f64_e32 v1, v[2:3]
	v_add_co_u32 v2, vcc_lo, v4, s6
	s_wait_alu 0xfffd
	v_add_co_ci_u32_e32 v3, vcc_lo, s7, v5, vcc_lo
	ds_load_b64 v[4:5], v167 offset:13752
	global_store_b64 v[2:3], v[0:1], off
	global_load_b64 v[0:1], v[120:121], off offset:13752
	v_add_co_u32 v2, vcc_lo, v2, s6
	s_wait_alu 0xfffd
	v_add_co_ci_u32_e32 v3, vcc_lo, s7, v3, vcc_lo
	s_wait_loadcnt_dscnt 0x0
	v_mul_f32_e32 v6, v5, v1
	v_mul_f32_e32 v1, v4, v1
	s_delay_alu instid0(VALU_DEP_2) | instskip(NEXT) | instid1(VALU_DEP_2)
	v_fmac_f32_e32 v6, v4, v0
	v_fma_f32 v4, v0, v5, -v1
	s_delay_alu instid0(VALU_DEP_2) | instskip(NEXT) | instid1(VALU_DEP_2)
	v_cvt_f64_f32_e32 v[0:1], v6
	v_cvt_f64_f32_e32 v[4:5], v4
	s_delay_alu instid0(VALU_DEP_2) | instskip(NEXT) | instid1(VALU_DEP_2)
	v_mul_f64_e32 v[0:1], s[2:3], v[0:1]
	v_mul_f64_e32 v[4:5], s[2:3], v[4:5]
	s_delay_alu instid0(VALU_DEP_2) | instskip(NEXT) | instid1(VALU_DEP_2)
	v_cvt_f32_f64_e32 v0, v[0:1]
	v_cvt_f32_f64_e32 v1, v[4:5]
	global_store_b64 v[2:3], v[0:1], off
.LBB0_15:
	s_nop 0
	s_sendmsg sendmsg(MSG_DEALLOC_VGPRS)
	s_endpgm
	.section	.rodata,"a",@progbits
	.p2align	6, 0x0
	.amdhsa_kernel bluestein_single_back_len1782_dim1_sp_op_CI_CI
		.amdhsa_group_segment_fixed_size 14256
		.amdhsa_private_segment_fixed_size 0
		.amdhsa_kernarg_size 104
		.amdhsa_user_sgpr_count 2
		.amdhsa_user_sgpr_dispatch_ptr 0
		.amdhsa_user_sgpr_queue_ptr 0
		.amdhsa_user_sgpr_kernarg_segment_ptr 1
		.amdhsa_user_sgpr_dispatch_id 0
		.amdhsa_user_sgpr_private_segment_size 0
		.amdhsa_wavefront_size32 1
		.amdhsa_uses_dynamic_stack 0
		.amdhsa_enable_private_segment 0
		.amdhsa_system_sgpr_workgroup_id_x 1
		.amdhsa_system_sgpr_workgroup_id_y 0
		.amdhsa_system_sgpr_workgroup_id_z 0
		.amdhsa_system_sgpr_workgroup_info 0
		.amdhsa_system_vgpr_workitem_id 0
		.amdhsa_next_free_vgpr 239
		.amdhsa_next_free_sgpr 16
		.amdhsa_reserve_vcc 1
		.amdhsa_float_round_mode_32 0
		.amdhsa_float_round_mode_16_64 0
		.amdhsa_float_denorm_mode_32 3
		.amdhsa_float_denorm_mode_16_64 3
		.amdhsa_fp16_overflow 0
		.amdhsa_workgroup_processor_mode 1
		.amdhsa_memory_ordered 1
		.amdhsa_forward_progress 0
		.amdhsa_round_robin_scheduling 0
		.amdhsa_exception_fp_ieee_invalid_op 0
		.amdhsa_exception_fp_denorm_src 0
		.amdhsa_exception_fp_ieee_div_zero 0
		.amdhsa_exception_fp_ieee_overflow 0
		.amdhsa_exception_fp_ieee_underflow 0
		.amdhsa_exception_fp_ieee_inexact 0
		.amdhsa_exception_int_div_zero 0
	.end_amdhsa_kernel
	.text
.Lfunc_end0:
	.size	bluestein_single_back_len1782_dim1_sp_op_CI_CI, .Lfunc_end0-bluestein_single_back_len1782_dim1_sp_op_CI_CI
                                        ; -- End function
	.section	.AMDGPU.csdata,"",@progbits
; Kernel info:
; codeLenInByte = 25732
; NumSgprs: 18
; NumVgprs: 239
; ScratchSize: 0
; MemoryBound: 0
; FloatMode: 240
; IeeeMode: 1
; LDSByteSize: 14256 bytes/workgroup (compile time only)
; SGPRBlocks: 2
; VGPRBlocks: 29
; NumSGPRsForWavesPerEU: 18
; NumVGPRsForWavesPerEU: 239
; Occupancy: 6
; WaveLimiterHint : 1
; COMPUTE_PGM_RSRC2:SCRATCH_EN: 0
; COMPUTE_PGM_RSRC2:USER_SGPR: 2
; COMPUTE_PGM_RSRC2:TRAP_HANDLER: 0
; COMPUTE_PGM_RSRC2:TGID_X_EN: 1
; COMPUTE_PGM_RSRC2:TGID_Y_EN: 0
; COMPUTE_PGM_RSRC2:TGID_Z_EN: 0
; COMPUTE_PGM_RSRC2:TIDIG_COMP_CNT: 0
	.text
	.p2alignl 7, 3214868480
	.fill 96, 4, 3214868480
	.type	__hip_cuid_f96c228ca662cbc5,@object ; @__hip_cuid_f96c228ca662cbc5
	.section	.bss,"aw",@nobits
	.globl	__hip_cuid_f96c228ca662cbc5
__hip_cuid_f96c228ca662cbc5:
	.byte	0                               ; 0x0
	.size	__hip_cuid_f96c228ca662cbc5, 1

	.ident	"AMD clang version 19.0.0git (https://github.com/RadeonOpenCompute/llvm-project roc-6.4.0 25133 c7fe45cf4b819c5991fe208aaa96edf142730f1d)"
	.section	".note.GNU-stack","",@progbits
	.addrsig
	.addrsig_sym __hip_cuid_f96c228ca662cbc5
	.amdgpu_metadata
---
amdhsa.kernels:
  - .args:
      - .actual_access:  read_only
        .address_space:  global
        .offset:         0
        .size:           8
        .value_kind:     global_buffer
      - .actual_access:  read_only
        .address_space:  global
        .offset:         8
        .size:           8
        .value_kind:     global_buffer
      - .actual_access:  read_only
        .address_space:  global
        .offset:         16
        .size:           8
        .value_kind:     global_buffer
      - .actual_access:  read_only
        .address_space:  global
        .offset:         24
        .size:           8
        .value_kind:     global_buffer
      - .actual_access:  read_only
        .address_space:  global
        .offset:         32
        .size:           8
        .value_kind:     global_buffer
      - .offset:         40
        .size:           8
        .value_kind:     by_value
      - .address_space:  global
        .offset:         48
        .size:           8
        .value_kind:     global_buffer
      - .address_space:  global
        .offset:         56
        .size:           8
        .value_kind:     global_buffer
      - .address_space:  global
        .offset:         64
        .size:           8
        .value_kind:     global_buffer
      - .address_space:  global
        .offset:         72
        .size:           8
        .value_kind:     global_buffer
      - .offset:         80
        .size:           4
        .value_kind:     by_value
      - .address_space:  global
        .offset:         88
        .size:           8
        .value_kind:     global_buffer
      - .address_space:  global
        .offset:         96
        .size:           8
        .value_kind:     global_buffer
    .group_segment_fixed_size: 14256
    .kernarg_segment_align: 8
    .kernarg_segment_size: 104
    .language:       OpenCL C
    .language_version:
      - 2
      - 0
    .max_flat_workgroup_size: 99
    .name:           bluestein_single_back_len1782_dim1_sp_op_CI_CI
    .private_segment_fixed_size: 0
    .sgpr_count:     18
    .sgpr_spill_count: 0
    .symbol:         bluestein_single_back_len1782_dim1_sp_op_CI_CI.kd
    .uniform_work_group_size: 1
    .uses_dynamic_stack: false
    .vgpr_count:     239
    .vgpr_spill_count: 0
    .wavefront_size: 32
    .workgroup_processor_mode: 1
amdhsa.target:   amdgcn-amd-amdhsa--gfx1201
amdhsa.version:
  - 1
  - 2
...

	.end_amdgpu_metadata
